;; amdgpu-corpus repo=ROCm/rocFFT kind=compiled arch=gfx950 opt=O3
	.text
	.amdgcn_target "amdgcn-amd-amdhsa--gfx950"
	.amdhsa_code_object_version 6
	.protected	fft_rtc_fwd_len1650_factors_11_2_3_5_5_wgs_110_tpt_110_halfLds_sp_op_CI_CI_unitstride_sbrr_dirReg ; -- Begin function fft_rtc_fwd_len1650_factors_11_2_3_5_5_wgs_110_tpt_110_halfLds_sp_op_CI_CI_unitstride_sbrr_dirReg
	.globl	fft_rtc_fwd_len1650_factors_11_2_3_5_5_wgs_110_tpt_110_halfLds_sp_op_CI_CI_unitstride_sbrr_dirReg
	.p2align	8
	.type	fft_rtc_fwd_len1650_factors_11_2_3_5_5_wgs_110_tpt_110_halfLds_sp_op_CI_CI_unitstride_sbrr_dirReg,@function
fft_rtc_fwd_len1650_factors_11_2_3_5_5_wgs_110_tpt_110_halfLds_sp_op_CI_CI_unitstride_sbrr_dirReg: ; @fft_rtc_fwd_len1650_factors_11_2_3_5_5_wgs_110_tpt_110_halfLds_sp_op_CI_CI_unitstride_sbrr_dirReg
; %bb.0:
	s_load_dwordx4 s[4:7], s[0:1], 0x58
	s_load_dwordx4 s[8:11], s[0:1], 0x0
	;; [unrolled: 1-line block ×3, first 2 shown]
	v_mul_u32_u24_e32 v1, 0x254, v0
	v_add_u32_sdwa v8, s2, v1 dst_sel:DWORD dst_unused:UNUSED_PAD src0_sel:DWORD src1_sel:WORD_1
	v_mov_b32_e32 v6, 0
	s_waitcnt lgkmcnt(0)
	v_cmp_lt_u64_e64 s[2:3], s[10:11], 2
	v_mov_b32_e32 v9, v6
	s_and_b64 vcc, exec, s[2:3]
	v_mov_b64_e32 v[14:15], 0
	s_cbranch_vccnz .LBB0_8
; %bb.1:
	s_load_dwordx2 s[2:3], s[0:1], 0x10
	s_add_u32 s16, s14, 8
	s_addc_u32 s17, s15, 0
	s_add_u32 s18, s12, 8
	s_addc_u32 s19, s13, 0
	s_waitcnt lgkmcnt(0)
	s_add_u32 s20, s2, 8
	v_mov_b64_e32 v[14:15], 0
	s_addc_u32 s21, s3, 0
	s_mov_b64 s[22:23], 1
	v_mov_b64_e32 v[2:3], v[14:15]
.LBB0_2:                                ; =>This Inner Loop Header: Depth=1
	s_load_dwordx2 s[24:25], s[20:21], 0x0
                                        ; implicit-def: $vgpr4_vgpr5
	s_waitcnt lgkmcnt(0)
	v_or_b32_e32 v7, s25, v9
	v_cmp_ne_u64_e32 vcc, 0, v[6:7]
	s_and_saveexec_b64 s[2:3], vcc
	s_xor_b64 s[26:27], exec, s[2:3]
	s_cbranch_execz .LBB0_4
; %bb.3:                                ;   in Loop: Header=BB0_2 Depth=1
	v_cvt_f32_u32_e32 v1, s24
	v_cvt_f32_u32_e32 v4, s25
	s_sub_u32 s2, 0, s24
	s_subb_u32 s3, 0, s25
	v_fmac_f32_e32 v1, 0x4f800000, v4
	v_rcp_f32_e32 v1, v1
	s_nop 0
	v_mul_f32_e32 v1, 0x5f7ffffc, v1
	v_mul_f32_e32 v4, 0x2f800000, v1
	v_trunc_f32_e32 v4, v4
	v_fmac_f32_e32 v1, 0xcf800000, v4
	v_cvt_u32_f32_e32 v7, v4
	v_cvt_u32_f32_e32 v1, v1
	v_mul_lo_u32 v4, s2, v7
	v_mul_hi_u32 v10, s2, v1
	v_mul_lo_u32 v5, s3, v1
	v_add_u32_e32 v10, v10, v4
	v_mul_lo_u32 v12, s2, v1
	v_add_u32_e32 v13, v10, v5
	v_mul_hi_u32 v4, v1, v12
	v_mul_hi_u32 v11, v1, v13
	v_mul_lo_u32 v10, v1, v13
	v_mov_b32_e32 v5, v6
	v_lshl_add_u64 v[4:5], v[4:5], 0, v[10:11]
	v_mul_hi_u32 v11, v7, v12
	v_mul_lo_u32 v12, v7, v12
	v_add_co_u32_e32 v4, vcc, v4, v12
	v_mul_hi_u32 v10, v7, v13
	s_nop 0
	v_addc_co_u32_e32 v4, vcc, v5, v11, vcc
	v_mov_b32_e32 v5, v6
	s_nop 0
	v_addc_co_u32_e32 v11, vcc, 0, v10, vcc
	v_mul_lo_u32 v10, v7, v13
	v_lshl_add_u64 v[4:5], v[4:5], 0, v[10:11]
	v_add_co_u32_e32 v1, vcc, v1, v4
	v_mul_lo_u32 v10, s2, v1
	s_nop 0
	v_addc_co_u32_e32 v7, vcc, v7, v5, vcc
	v_mul_lo_u32 v4, s2, v7
	v_mul_hi_u32 v5, s2, v1
	v_add_u32_e32 v4, v5, v4
	v_mul_lo_u32 v5, s3, v1
	v_add_u32_e32 v12, v4, v5
	v_mul_hi_u32 v16, v7, v10
	v_mul_lo_u32 v17, v7, v10
	v_mul_hi_u32 v5, v1, v12
	v_mul_lo_u32 v4, v1, v12
	v_mul_hi_u32 v10, v1, v10
	v_mov_b32_e32 v11, v6
	v_lshl_add_u64 v[4:5], v[10:11], 0, v[4:5]
	v_add_co_u32_e32 v4, vcc, v4, v17
	v_mul_hi_u32 v13, v7, v12
	s_nop 0
	v_addc_co_u32_e32 v4, vcc, v5, v16, vcc
	v_mul_lo_u32 v10, v7, v12
	s_nop 0
	v_addc_co_u32_e32 v11, vcc, 0, v13, vcc
	v_mov_b32_e32 v5, v6
	v_lshl_add_u64 v[4:5], v[4:5], 0, v[10:11]
	v_add_co_u32_e32 v1, vcc, v1, v4
	v_mul_hi_u32 v10, v8, v1
	s_nop 0
	v_addc_co_u32_e32 v7, vcc, v7, v5, vcc
	v_mad_u64_u32 v[4:5], s[2:3], v8, v7, 0
	v_mov_b32_e32 v11, v6
	v_lshl_add_u64 v[4:5], v[10:11], 0, v[4:5]
	v_mad_u64_u32 v[12:13], s[2:3], v9, v1, 0
	v_add_co_u32_e32 v1, vcc, v4, v12
	v_mad_u64_u32 v[10:11], s[2:3], v9, v7, 0
	s_nop 0
	v_addc_co_u32_e32 v4, vcc, v5, v13, vcc
	v_mov_b32_e32 v5, v6
	s_nop 0
	v_addc_co_u32_e32 v11, vcc, 0, v11, vcc
	v_lshl_add_u64 v[4:5], v[4:5], 0, v[10:11]
	v_mul_lo_u32 v1, s25, v4
	v_mul_lo_u32 v7, s24, v5
	v_mad_u64_u32 v[10:11], s[2:3], s24, v4, 0
	v_add3_u32 v1, v11, v7, v1
	v_sub_u32_e32 v7, v9, v1
	v_mov_b32_e32 v11, s25
	v_sub_co_u32_e32 v16, vcc, v8, v10
	v_lshl_add_u64 v[12:13], v[4:5], 0, 1
	s_nop 0
	v_subb_co_u32_e64 v7, s[2:3], v7, v11, vcc
	v_subrev_co_u32_e64 v10, s[2:3], s24, v16
	v_subb_co_u32_e32 v1, vcc, v9, v1, vcc
	s_nop 0
	v_subbrev_co_u32_e64 v7, s[2:3], 0, v7, s[2:3]
	v_cmp_le_u32_e64 s[2:3], s25, v7
	v_cmp_le_u32_e32 vcc, s25, v1
	s_nop 0
	v_cndmask_b32_e64 v11, 0, -1, s[2:3]
	v_cmp_le_u32_e64 s[2:3], s24, v10
	s_nop 1
	v_cndmask_b32_e64 v10, 0, -1, s[2:3]
	v_cmp_eq_u32_e64 s[2:3], s25, v7
	s_nop 1
	v_cndmask_b32_e64 v7, v11, v10, s[2:3]
	v_lshl_add_u64 v[10:11], v[4:5], 0, 2
	v_cmp_ne_u32_e64 s[2:3], 0, v7
	s_nop 1
	v_cndmask_b32_e64 v7, v13, v11, s[2:3]
	v_cndmask_b32_e64 v11, 0, -1, vcc
	v_cmp_le_u32_e32 vcc, s24, v16
	s_nop 1
	v_cndmask_b32_e64 v13, 0, -1, vcc
	v_cmp_eq_u32_e32 vcc, s25, v1
	s_nop 1
	v_cndmask_b32_e32 v1, v11, v13, vcc
	v_cmp_ne_u32_e32 vcc, 0, v1
	v_cndmask_b32_e64 v1, v12, v10, s[2:3]
	s_nop 0
	v_cndmask_b32_e32 v5, v5, v7, vcc
	v_cndmask_b32_e32 v4, v4, v1, vcc
.LBB0_4:                                ;   in Loop: Header=BB0_2 Depth=1
	s_andn2_saveexec_b64 s[2:3], s[26:27]
	s_cbranch_execz .LBB0_6
; %bb.5:                                ;   in Loop: Header=BB0_2 Depth=1
	v_cvt_f32_u32_e32 v1, s24
	s_sub_i32 s26, 0, s24
	v_rcp_iflag_f32_e32 v1, v1
	s_nop 0
	v_mul_f32_e32 v1, 0x4f7ffffe, v1
	v_cvt_u32_f32_e32 v1, v1
	v_mul_lo_u32 v4, s26, v1
	v_mul_hi_u32 v4, v1, v4
	v_add_u32_e32 v1, v1, v4
	v_mul_hi_u32 v1, v8, v1
	v_mul_lo_u32 v4, v1, s24
	v_sub_u32_e32 v4, v8, v4
	v_add_u32_e32 v5, 1, v1
	v_subrev_u32_e32 v7, s24, v4
	v_cmp_le_u32_e32 vcc, s24, v4
	s_nop 1
	v_cndmask_b32_e32 v4, v4, v7, vcc
	v_cndmask_b32_e32 v1, v1, v5, vcc
	v_add_u32_e32 v5, 1, v1
	v_cmp_le_u32_e32 vcc, s24, v4
	s_nop 1
	v_cndmask_b32_e32 v4, v1, v5, vcc
	v_mov_b32_e32 v5, v6
.LBB0_6:                                ;   in Loop: Header=BB0_2 Depth=1
	s_or_b64 exec, exec, s[2:3]
	v_mad_u64_u32 v[10:11], s[2:3], v4, s24, 0
	s_load_dwordx2 s[2:3], s[18:19], 0x0
	v_mul_lo_u32 v1, v5, s24
	v_mul_lo_u32 v7, v4, s25
	s_load_dwordx2 s[24:25], s[16:17], 0x0
	s_add_u32 s22, s22, 1
	v_add3_u32 v1, v11, v7, v1
	v_sub_co_u32_e32 v7, vcc, v8, v10
	s_addc_u32 s23, s23, 0
	s_nop 0
	v_subb_co_u32_e32 v1, vcc, v9, v1, vcc
	s_add_u32 s16, s16, 8
	s_waitcnt lgkmcnt(0)
	v_mul_lo_u32 v8, s2, v1
	v_mul_lo_u32 v9, s3, v7
	v_mad_u64_u32 v[14:15], s[2:3], s2, v7, v[14:15]
	s_addc_u32 s17, s17, 0
	v_add3_u32 v15, v9, v15, v8
	v_mul_lo_u32 v1, s24, v1
	v_mul_lo_u32 v8, s25, v7
	v_mad_u64_u32 v[2:3], s[2:3], s24, v7, v[2:3]
	s_add_u32 s18, s18, 8
	v_add3_u32 v3, v8, v3, v1
	s_addc_u32 s19, s19, 0
	v_mov_b64_e32 v[8:9], s[10:11]
	s_add_u32 s20, s20, 8
	v_cmp_ge_u64_e32 vcc, s[22:23], v[8:9]
	s_addc_u32 s21, s21, 0
	s_cbranch_vccnz .LBB0_9
; %bb.7:                                ;   in Loop: Header=BB0_2 Depth=1
	v_mov_b64_e32 v[8:9], v[4:5]
	s_branch .LBB0_2
.LBB0_8:
	v_mov_b64_e32 v[2:3], v[14:15]
	v_mov_b64_e32 v[4:5], v[8:9]
.LBB0_9:
	s_load_dwordx2 s[2:3], s[0:1], 0x28
	s_lshl_b64 s[16:17], s[10:11], 3
	s_add_u32 s10, s14, s16
	s_addc_u32 s11, s15, s17
                                        ; implicit-def: $sgpr14
                                        ; implicit-def: $vgpr102
	s_waitcnt lgkmcnt(0)
	v_cmp_gt_u64_e64 s[0:1], s[2:3], v[4:5]
	v_cmp_le_u64_e32 vcc, s[2:3], v[4:5]
	s_and_saveexec_b64 s[2:3], vcc
	s_xor_b64 s[2:3], exec, s[2:3]
; %bb.10:
	s_mov_b32 s14, 0x253c826
	v_mul_hi_u32 v1, v0, s14
	v_mul_u32_u24_e32 v1, 0x6e, v1
	v_sub_u32_e32 v102, v0, v1
	s_mov_b32 s14, 0
                                        ; implicit-def: $vgpr0
                                        ; implicit-def: $vgpr14_vgpr15
; %bb.11:
	s_or_saveexec_b64 s[2:3], s[2:3]
	s_load_dwordx2 s[10:11], s[10:11], 0x0
	v_mov_b32_e32 v1, s14
	v_mov_b32_e32 v25, s14
                                        ; implicit-def: $vgpr20
                                        ; implicit-def: $vgpr18
                                        ; implicit-def: $vgpr6
                                        ; implicit-def: $vgpr50
                                        ; implicit-def: $vgpr44
                                        ; implicit-def: $vgpr46
                                        ; implicit-def: $vgpr78
                                        ; implicit-def: $vgpr34
                                        ; implicit-def: $vgpr38
                                        ; implicit-def: $vgpr28
                                        ; implicit-def: $vgpr30
                                        ; implicit-def: $vgpr12
                                        ; implicit-def: $vgpr22
                                        ; implicit-def: $vgpr8
                                        ; implicit-def: $vgpr26
                                        ; implicit-def: $vgpr16
                                        ; implicit-def: $vgpr10
                                        ; implicit-def: $vgpr71
                                        ; implicit-def: $vgpr37
                                        ; implicit-def: $vgpr48
                                        ; implicit-def: $vgpr40
                                        ; implicit-def: $vgpr32
                                        ; implicit-def: $vgpr42
	s_xor_b64 exec, exec, s[2:3]
	s_cbranch_execz .LBB0_15
; %bb.12:
	s_add_u32 s12, s12, s16
	s_addc_u32 s13, s13, s17
	s_load_dwordx2 s[12:13], s[12:13], 0x0
	s_mov_b32 s14, 0x253c826
	v_mov_b32_e32 v25, 0
                                        ; implicit-def: $vgpr11
                                        ; implicit-def: $vgpr16
                                        ; implicit-def: $vgpr26
                                        ; implicit-def: $vgpr9
                                        ; implicit-def: $vgpr23
                                        ; implicit-def: $vgpr13
                                        ; implicit-def: $vgpr31
                                        ; implicit-def: $vgpr29
                                        ; implicit-def: $vgpr18
                                        ; implicit-def: $vgpr20
	s_waitcnt lgkmcnt(0)
	v_mul_lo_u32 v1, s13, v4
	v_mul_lo_u32 v8, s12, v5
	v_mad_u64_u32 v[6:7], s[12:13], s12, v4, 0
	v_add3_u32 v7, v7, v8, v1
	v_mul_hi_u32 v1, v0, s14
	v_mul_u32_u24_e32 v1, 0x6e, v1
	v_sub_u32_e32 v102, v0, v1
	v_lshl_add_u64 v[0:1], v[6:7], 3, s[4:5]
	v_lshl_add_u64 v[0:1], v[14:15], 3, v[0:1]
	v_lshlrev_b32_e32 v24, 3, v102
	v_lshl_add_u64 v[44:45], v[0:1], 0, v[24:25]
	s_movk_i32 s4, 0x1000
	v_add_co_u32_e32 v0, vcc, s4, v44
	global_load_dwordx2 v[14:15], v[44:45], off
	global_load_dwordx2 v[36:37], v[44:45], off offset:1200
	global_load_dwordx2 v[48:49], v[44:45], off offset:2400
	;; [unrolled: 1-line block ×3, first 2 shown]
	v_addc_co_u32_e32 v1, vcc, 0, v45, vcc
	v_add_co_u32_e32 v6, vcc, 0x2000, v44
	s_nop 1
	v_addc_co_u32_e32 v7, vcc, 0, v45, vcc
	global_load_dwordx2 v[40:41], v[0:1], off offset:704
	global_load_dwordx2 v[32:33], v[0:1], off offset:1904
	;; [unrolled: 1-line block ×7, first 2 shown]
	v_cmp_gt_u32_e32 vcc, 40, v102
	v_mov_b32_e32 v1, v25
                                        ; implicit-def: $vgpr7
	s_and_saveexec_b64 s[4:5], vcc
	s_cbranch_execz .LBB0_14
; %bb.13:
	v_add_co_u32_e32 v6, vcc, 0x1000, v44
	global_load_dwordx2 v[0:1], v[44:45], off offset:880
	s_nop 0
	v_addc_co_u32_e32 v7, vcc, 0, v45, vcc
	v_add_co_u32_e32 v24, vcc, 0x2000, v44
	global_load_dwordx2 v[12:13], v[6:7], off offset:1584
	global_load_dwordx2 v[22:23], v[6:7], off offset:2784
	global_load_dwordx2 v[16:17], v[6:7], off offset:3984
	v_addc_co_u32_e32 v25, vcc, 0, v45, vcc
	v_add_co_u32_e32 v50, vcc, 0x3000, v44
	s_nop 1
	v_addc_co_u32_e32 v51, vcc, 0, v45, vcc
	global_load_dwordx2 v[26:27], v[24:25], off offset:2288
	global_load_dwordx2 v[8:9], v[24:25], off offset:3488
	;; [unrolled: 1-line block ×7, first 2 shown]
	s_waitcnt vmcnt(10)
	v_mov_b32_e32 v25, v0
	s_waitcnt vmcnt(7)
	v_mov_b32_e32 v24, v16
	v_mov_b32_e32 v0, v17
	s_waitcnt vmcnt(6)
	v_mov_b32_e32 v16, v27
	s_waitcnt vmcnt(4)
	;; [unrolled: 2-line block ×3, first 2 shown]
	v_mov_b32_e32 v6, v21
.LBB0_14:
	s_or_b64 exec, exec, s[4:5]
	s_waitcnt vmcnt(7)
	v_mov_b32_e32 v50, v47
	s_waitcnt vmcnt(0)
	v_mov_b32_e32 v51, v53
	v_mov_b32_e32 v44, v79
	;; [unrolled: 1-line block ×6, first 2 shown]
.LBB0_15:
	s_or_b64 exec, exec, s[2:3]
	v_add_f32_e32 v14, v79, v71
	v_pk_add_f32 v[52:53], v[34:35], v[48:49]
	v_pk_add_f32 v[54:55], v[48:49], v[34:35] neg_lo:[0,1] neg_hi:[0,1]
	v_add_f32_e32 v70, v14, v48
	v_mov_b32_e32 v14, v52
	v_mov_b32_e32 v15, v55
	s_mov_b32 s13, 0xbf68dda4
	s_mov_b32 s12, 0x3ed4b147
	v_pk_mul_f32 v[56:57], v[14:15], s[12:13]
	s_mov_b32 s15, 0xbf7d64f0
	v_mov_b32_e32 v17, v56
	v_pk_fma_f32 v[106:107], v[14:15], s[12:13], v[16:17] neg_lo:[1,0,0] neg_hi:[1,0,0]
	v_mov_b32_e32 v14, v46
	v_mov_b32_e32 v15, v50
	v_pk_add_f32 v[64:65], v[14:15], v[42:43]
	v_pk_add_f32 v[68:69], v[14:15], v[42:43] neg_lo:[0,1] neg_hi:[0,1]
	v_mov_b32_e32 v14, v64
	v_mov_b32_e32 v15, v69
	s_mov_b32 s14, 0xbe11bafb
	v_add_f32_e32 v19, v57, v56
	v_pk_mul_f32 v[56:57], v[14:15], s[14:15]
	v_pk_add_f32 v[66:67], v[38:39], v[40:41]
	v_mov_b32_e32 v17, v56
	v_pk_add_f32 v[72:73], v[40:41], v[38:39] neg_lo:[0,1] neg_hi:[0,1]
	v_pk_fma_f32 v[108:109], v[14:15], s[14:15], v[16:17] neg_lo:[1,0,0] neg_hi:[1,0,0]
	v_mov_b32_e32 v14, v66
	v_mov_b32_e32 v15, v73
	s_mov_b32 s17, 0xbf4178ce
	s_mov_b32 s16, 0xbf27a4f4
	v_add_f32_e32 v21, v57, v56
	v_pk_mul_f32 v[56:57], v[14:15], s[16:17]
	s_mov_b32 s19, 0xbe903f40
	v_mov_b32_e32 v17, v56
	v_pk_fma_f32 v[110:111], v[14:15], s[16:17], v[16:17] neg_lo:[1,0,0] neg_hi:[1,0,0]
	v_mov_b32_e32 v14, v78
	v_mov_b32_e32 v15, v44
	v_pk_add_f32 v[74:75], v[32:33], v[14:15]
	v_pk_add_f32 v[76:77], v[32:33], v[14:15] neg_lo:[0,1] neg_hi:[0,1]
	v_mov_b32_e32 v14, v74
	v_mov_b32_e32 v15, v77
	s_mov_b32 s18, 0xbf75a155
	v_add_f32_e32 v27, v57, v56
	v_pk_mul_f32 v[56:57], v[14:15], s[18:19]
	v_pk_add_f32 v[82:83], v[28:29], v[6:7] neg_lo:[0,1] neg_hi:[0,1]
	v_mov_b32_e32 v17, v56
	s_mov_b32 s2, s15
	s_mov_b32 s3, s17
	;; [unrolled: 1-line block ×3, first 2 shown]
	v_pk_fma_f32 v[112:113], v[14:15], s[18:19], v[16:17] neg_lo:[1,0,0] neg_hi:[1,0,0]
	v_add_f32_e32 v98, v28, v18
	v_pk_add_f32 v[58:59], v[30:31], v[8:9] neg_lo:[0,1] neg_hi:[0,1]
	v_mov_b32_e32 v14, v23
	s_mov_b32 s20, s14
	s_mov_b32 s21, s16
	v_pk_mul_f32 v[86:87], v[82:83], s[2:3] op_sel:[1,0]
	s_mov_b32 s23, 0x3f7d64f0
	v_add_f32_e32 v17, v57, v56
	v_pk_add_f32 v[62:63], v[30:31], v[8:9]
	v_pk_add_f32 v[84:85], v[14:15], v[0:1] op_sel_hi:[0,1] neg_lo:[0,1] neg_hi:[0,1]
	v_pk_fma_f32 v[14:15], v[98:99], s[20:21], v[86:87] op_sel_hi:[0,1,1] neg_lo:[0,0,1] neg_hi:[0,0,1]
	v_mov_b32_e32 v48, v25
	s_mov_b32 s24, s18
	s_mov_b32 s25, s14
	v_pk_mul_f32 v[88:89], v[58:59], s[22:23] op_sel:[1,0]
	s_mov_b32 s5, 0xbf0a6770
	v_pk_add_f32 v[80:81], v[6:7], v[16:17] op_sel_hi:[1,0] neg_lo:[0,1] neg_hi:[0,1]
	v_pk_add_f32 v[14:15], v[48:49], v[14:15] op_sel_hi:[0,1]
	v_pk_fma_f32 v[90:91], v[62:63], s[24:25], v[88:89] op_sel_hi:[0,1,1] neg_lo:[0,0,1] neg_hi:[0,0,1]
	s_mov_b32 s4, 0x3f68dda4
	v_add_f32_e32 v96, v20, v26
	v_pk_add_f32 v[14:15], v[14:15], v[90:91]
	s_mov_b32 s29, 0x3f575c64
	s_mov_b32 s28, s12
	v_pk_mul_f32 v[90:91], v[80:81], s[4:5] op_sel_hi:[0,1]
	v_pk_add_f32 v[56:57], v[12:13], v[10:11] neg_lo:[0,1] neg_hi:[0,1]
	v_pk_fma_f32 v[92:93], v[96:97], s[28:29], v[90:91] op_sel_hi:[0,1,1] neg_lo:[0,0,1] neg_hi:[0,0,1]
	s_mov_b32 s2, s5
	s_mov_b32 s3, s19
	v_pk_add_f32 v[60:61], v[12:13], v[10:11]
	v_pk_add_f32 v[14:15], v[14:15], v[92:93]
	s_mov_b32 s26, s29
	s_mov_b32 s27, s18
	v_pk_mul_f32 v[92:93], v[56:57], s[2:3] op_sel:[1,0]
	s_mov_b32 s2, s17
	v_pk_fma_f32 v[94:95], v[60:61], s[26:27], v[92:93] op_sel_hi:[0,1,1] neg_lo:[0,0,1] neg_hi:[0,0,1]
	s_mov_b32 s3, s4
	v_pk_add_f32 v[100:101], v[22:23], v[24:25]
	v_pk_add_f32 v[14:15], v[14:15], v[94:95]
	s_mov_b32 s30, s16
	s_mov_b32 s31, s12
	v_pk_mul_f32 v[94:95], v[84:85], s[2:3] op_sel_hi:[0,1]
	v_pk_fma_f32 v[114:115], v[100:101], s[30:31], v[94:95] op_sel_hi:[0,1,1] neg_lo:[0,0,1] neg_hi:[0,0,1]
	v_sub_f32_e32 v36, v37, v51
	v_pk_add_f32 v[14:15], v[14:15], v[114:115]
	v_pk_add_f32 v[114:115], v[70:71], v[46:47]
	v_mul_f32_e32 v105, 0xbf0a6770, v36
	v_mov_b32_e32 v117, 0x3f575c64
	v_mov_b32_e32 v116, v40
	v_pk_add_f32 v[118:119], v[114:115], v[40:41]
	v_mov_b32_e32 v104, v32
	v_pk_add_f32 v[118:119], v[118:119], v[32:33]
	v_pk_fma_f32 v[104:105], v[114:115], v[116:117], v[104:105] neg_lo:[0,0,1] neg_hi:[0,0,1]
	v_mov_b32_e32 v106, v38
	v_mov_b32_e32 v119, v105
	v_pk_add_f32 v[104:105], v[118:119], v[78:79]
	v_mov_b32_e32 v108, v42
	v_pk_add_f32 v[104:105], v[104:105], v[106:107]
	v_pk_mul_f32 v[120:121], v[114:115], v[116:117]
	v_pk_add_f32 v[104:105], v[104:105], v[108:109]
	v_mov_b32_e32 v110, v34
	v_fmac_f32_e32 v121, 0xbf0a6770, v36
	v_pk_add_f32 v[104:105], v[110:111], v[104:105]
	v_mov_b32_e32 v112, v47
	s_mov_b32 s48, s12
	s_mov_b32 s49, s14
	v_mad_u32_u24 v103, v102, 44, 0
	v_add_f32_e32 v32, v121, v79
	v_pk_add_f32 v[104:105], v[104:105], v[112:113]
	s_mov_b32 s2, s13
	s_mov_b32 s3, s15
	;; [unrolled: 1-line block ×4, first 2 shown]
	v_pk_mul_f32 v[122:123], v[114:115], s[48:49] op_sel:[1,0]
	v_add_f32_e32 v19, v32, v19
	ds_write2_b32 v103, v104, v105 offset1:1
	v_pk_mul_f32 v[104:105], v[52:53], s[40:41] op_sel_hi:[0,1]
	s_mov_b32 s34, s17
	s_mov_b32 s35, s22
	;; [unrolled: 1-line block ×4, first 2 shown]
	v_pk_fma_f32 v[124:125], v[36:37], s[2:3], v[122:123] op_sel_hi:[0,1,1] neg_lo:[1,0,0] neg_hi:[1,0,0]
	v_mov_b32_e32 v32, v79
	v_pk_fma_f32 v[106:107], v[54:55], s[34:35], v[104:105] op_sel:[1,0,0] neg_lo:[1,0,0] neg_hi:[1,0,0]
	v_pk_mul_f32 v[108:109], v[64:65], s[42:43] op_sel_hi:[0,1]
	s_mov_b32 s36, s22
	s_mov_b32 s37, s4
	;; [unrolled: 1-line block ×4, first 2 shown]
	v_pk_add_f32 v[78:79], v[124:125], v[32:33] op_sel_hi:[1,0]
	v_pk_fma_f32 v[110:111], v[68:69], s[36:37], v[108:109] op_sel:[1,0,0] neg_lo:[1,0,0] neg_hi:[1,0,0]
	v_pk_mul_f32 v[112:113], v[66:67], s[44:45] op_sel_hi:[0,1]
	s_mov_b32 s38, s23
	s_mov_b32 s39, s5
	;; [unrolled: 1-line block ×4, first 2 shown]
	v_pk_add_f32 v[78:79], v[78:79], v[106:107]
	v_pk_fma_f32 v[116:117], v[72:73], s[38:39], v[112:113] op_sel:[1,0,0] neg_lo:[1,0,0] neg_hi:[1,0,0]
	v_pk_mul_f32 v[118:119], v[74:75], s[46:47] op_sel_hi:[0,1]
	s_mov_b32 s16, 0x3f0a6770
	v_pk_add_f32 v[78:79], v[110:111], v[78:79]
	v_pk_fma_f32 v[120:121], v[76:77], s[16:17], v[118:119] op_sel:[1,0,0] neg_lo:[1,0,0] neg_hi:[1,0,0]
	v_pk_add_f32 v[78:79], v[78:79], v[116:117]
	s_mov_b32 s18, s17
	v_pk_add_f32 v[78:79], v[120:121], v[78:79]
	v_pk_mul_f32 v[114:115], v[114:115], s[40:41] op_sel:[1,0]
	ds_write2_b32 v103, v78, v79 offset0:2 offset1:3
	v_pk_mul_f32 v[78:79], v[52:53], s[44:45] op_sel_hi:[0,1]
	s_mov_b32 s44, s23
	s_mov_b32 s45, s16
	v_pk_fma_f32 v[130:131], v[36:37], s[18:19], v[114:115] op_sel_hi:[0,1,1] neg_lo:[1,0,0] neg_hi:[1,0,0]
	v_pk_fma_f32 v[106:107], v[54:55], s[44:45], v[78:79] op_sel:[1,0,0] neg_lo:[1,0,0] neg_hi:[1,0,0]
	v_pk_mul_f32 v[110:111], v[64:65], s[46:47] op_sel_hi:[0,1]
	s_mov_b32 s46, s5
	s_mov_b32 s47, s17
	v_pk_add_f32 v[130:131], v[130:131], v[32:33] op_sel_hi:[1,0]
	v_pk_fma_f32 v[116:117], v[68:69], s[46:47], v[110:111] op_sel:[1,0,0] neg_lo:[1,0,0] neg_hi:[1,0,0]
	v_pk_mul_f32 v[120:121], v[66:67], s[42:43] op_sel_hi:[0,1]
	s_mov_b32 s42, s19
	s_mov_b32 s43, s4
	v_pk_add_f32 v[106:107], v[130:131], v[106:107]
	v_pk_fma_f32 v[124:125], v[72:73], s[42:43], v[120:121] op_sel:[1,0,0] neg_lo:[1,0,0] neg_hi:[1,0,0]
	v_pk_mul_f32 v[126:127], v[74:75], s[48:49] op_sel_hi:[0,1]
	s_mov_b32 s14, s4
	v_pk_add_f32 v[106:107], v[116:117], v[106:107]
	v_pk_fma_f32 v[128:129], v[76:77], s[14:15], v[126:127] op_sel:[1,0,0] neg_lo:[1,0,0] neg_hi:[1,0,0]
	v_pk_add_f32 v[106:107], v[106:107], v[124:125]
	v_pk_fma_f32 v[114:115], v[36:37], s[18:19], v[114:115] op_sel_hi:[0,1,1]
	v_pk_add_f32 v[106:107], v[128:129], v[106:107]
	v_pk_fma_f32 v[78:79], v[54:55], s[44:45], v[78:79] op_sel:[1,0,0]
	v_pk_add_f32 v[114:115], v[114:115], v[32:33] op_sel_hi:[1,0]
	ds_write2_b32 v103, v106, v107 offset0:4 offset1:5
	v_pk_fma_f32 v[106:107], v[68:69], s[46:47], v[110:111] op_sel:[1,0,0]
	v_pk_add_f32 v[78:79], v[114:115], v[78:79]
	v_pk_fma_f32 v[110:111], v[72:73], s[42:43], v[120:121] op_sel:[1,0,0]
	v_pk_add_f32 v[78:79], v[106:107], v[78:79]
	;; [unrolled: 2-line block ×3, first 2 shown]
	v_pk_fma_f32 v[110:111], v[36:37], s[2:3], v[122:123] op_sel_hi:[0,1,1]
	v_pk_add_f32 v[78:79], v[116:117], v[78:79]
	ds_write2_b32 v103, v79, v78 offset0:6 offset1:7
	v_mov_b32_e32 v34, v79
	v_pk_fma_f32 v[78:79], v[54:55], s[34:35], v[104:105] op_sel:[1,0,0]
	v_pk_add_f32 v[110:111], v[110:111], v[32:33] op_sel_hi:[1,0]
	v_pk_fma_f32 v[104:105], v[68:69], s[36:37], v[108:109] op_sel:[1,0,0]
	v_pk_add_f32 v[78:79], v[110:111], v[78:79]
	v_pk_fma_f32 v[106:107], v[72:73], s[38:39], v[112:113] op_sel:[1,0,0]
	v_pk_add_f32 v[78:79], v[104:105], v[78:79]
	v_add_f32_e32 v19, v21, v19
	v_pk_fma_f32 v[108:109], v[76:77], s[16:17], v[118:119] op_sel:[1,0,0]
	v_pk_add_f32 v[78:79], v[78:79], v[106:107]
	v_add_f32_e32 v19, v19, v27
	v_pk_add_f32 v[78:79], v[108:109], v[78:79]
	v_cmp_gt_u32_e64 s[2:3], 40, v102
	v_add_f32_e32 v19, v17, v19
	v_mov_b32_e32 v32, v79
	v_mov_b32_e32 v17, v78
	ds_write2_b32 v103, v79, v78 offset0:8 offset1:9
	ds_write_b32 v103, v19 offset:40
	s_and_saveexec_b64 s[34:35], s[2:3]
	s_cbranch_execz .LBB0_17
; %bb.16:
	v_add_f32_e32 v19, v25, v28
	v_mov_b32_e32 v99, v98
	v_add_f32_e32 v19, v19, v30
	v_pk_mul_f32 v[78:79], v[98:99], s[20:21] op_sel_hi:[0,1]
	v_mov_b32_e32 v82, v83
	v_mov_b32_e32 v106, v62
	;; [unrolled: 1-line block ×3, first 2 shown]
	v_mul_f32_e32 v32, 0xbf75a155, v98
	v_pk_mul_f32 v[98:99], v[98:99], s[28:29]
	s_mov_b32 s4, s13
	v_add_f32_e32 v19, v19, v20
	v_mov_b32_e32 v110, v59
	v_mov_b32_e32 v111, v59
	;; [unrolled: 1-line block ×3, first 2 shown]
	v_pk_mul_f32 v[106:107], v[106:107], s[30:31]
	s_mov_b32 s12, s17
	v_pk_fma_f32 v[124:125], v[82:83], s[4:5], v[98:99] neg_lo:[1,0,0] neg_hi:[1,0,0]
	v_add_f32_e32 v12, v19, v12
	v_pk_mul_f32 v[112:113], v[96:97], s[28:29] op_sel_hi:[0,1]
	v_mov_b32_e32 v81, v80
	v_mov_b32_e32 v114, v60
	;; [unrolled: 1-line block ×3, first 2 shown]
	v_mul_f32_e32 v40, 0xbf27a4f4, v96
	v_pk_mul_f32 v[96:97], v[96:97], s[24:25]
	s_mov_b32 s14, s22
	v_pk_fma_f32 v[126:127], v[110:111], s[12:13], v[106:107] neg_lo:[1,0,0] neg_hi:[1,0,0]
	v_add_f32_e32 v17, v25, v124
	v_add_f32_e32 v124, v12, v22
	v_mov_b32_e32 v118, v57
	v_mov_b32_e32 v119, v57
	;; [unrolled: 1-line block ×4, first 2 shown]
	v_pk_mul_f32 v[114:115], v[114:115], s[20:21]
	s_mov_b32 s20, s23
	s_mov_b32 s21, s17
	v_pk_fma_f32 v[128:129], v[80:81], s[14:15], v[96:97] neg_lo:[1,0,0] neg_hi:[1,0,0]
	v_add_f32_e32 v17, v17, v126
	v_pk_add_f32 v[124:125], v[124:125], v[24:25]
	v_mov_b32_e32 v126, v10
	v_mov_b32_e32 v85, v84
	v_pk_mul_f32 v[120:121], v[120:121], s[26:27]
	s_mov_b32 s17, s19
	v_pk_fma_f32 v[130:131], v[118:119], s[20:21], v[114:115] neg_lo:[1,0,0] neg_hi:[1,0,0]
	v_add_f32_e32 v17, v17, v128
	v_pk_add_f32 v[124:125], v[126:127], v[124:125]
	v_mov_b32_e32 v27, v129
	v_pk_fma_f32 v[132:133], v[84:85], s[16:17], v[120:121] neg_lo:[1,0,0] neg_hi:[1,0,0]
	v_add_f32_e32 v17, v17, v130
	v_pk_add_f32 v[124:125], v[26:27], v[124:125]
	v_mov_b32_e32 v130, v8
	v_pk_add_f32 v[124:125], v[130:131], v[124:125]
	v_mov_b32_e32 v19, v133
	v_mov_b32_e32 v104, v25
	;; [unrolled: 1-line block ×3, first 2 shown]
	v_pk_mul_f32 v[108:109], v[62:63], s[24:25] op_sel_hi:[0,1]
	v_mul_f32_e32 v34, 0xbe903f40, v83
	v_add_u32_e32 v12, 0x12e8, v103
	v_pk_add_f32 v[124:125], v[18:19], v[124:125]
	v_pk_add_f32 v[78:79], v[86:87], v[78:79]
	v_mul_f32_e32 v36, 0x3f575c64, v62
	v_mul_f32_e32 v38, 0x3f0a6770, v59
	v_add_f32_e32 v17, v17, v132
	ds_write2_b32 v12, v124, v125 offset1:1
	ds_write_b32 v103, v17 offset:4848
	v_pk_add_f32 v[124:125], v[32:33], v[34:35] neg_lo:[0,1] neg_hi:[0,1]
	v_pk_add_f32 v[126:127], v[32:33], v[34:35]
	v_pk_add_f32 v[78:79], v[104:105], v[78:79]
	v_pk_add_f32 v[86:87], v[88:89], v[108:109]
	v_pk_mul_f32 v[116:117], v[60:61], s[26:27] op_sel_hi:[0,1]
	v_mov_b32_e32 v125, v126
	v_pk_add_f32 v[126:127], v[36:37], v[38:39] neg_lo:[0,1] neg_hi:[0,1]
	v_pk_add_f32 v[128:129], v[36:37], v[38:39]
	v_pk_add_f32 v[78:79], v[78:79], v[86:87]
	;; [unrolled: 1-line block ×3, first 2 shown]
	v_pk_mul_f32 v[122:123], v[100:101], s[30:31] op_sel_hi:[0,1]
	v_mul_f32_e32 v42, 0xbf4178ce, v80
	v_pk_add_f32 v[124:125], v[104:105], v[124:125]
	v_mov_b32_e32 v127, v128
	v_pk_add_f32 v[78:79], v[78:79], v[86:87]
	v_pk_add_f32 v[86:87], v[92:93], v[116:117]
	;; [unrolled: 1-line block ×3, first 2 shown]
	v_pk_add_f32 v[126:127], v[40:41], v[42:43] neg_lo:[0,1] neg_hi:[0,1]
	v_pk_add_f32 v[128:129], v[40:41], v[42:43]
	v_pk_add_f32 v[78:79], v[78:79], v[86:87]
	;; [unrolled: 1-line block ×3, first 2 shown]
	v_mul_f32_e32 v46, 0x3ed4b147, v60
	v_mul_f32_e32 v48, 0x3f68dda4, v57
	v_mov_b32_e32 v127, v128
	v_add_u32_e32 v10, 0x1304, v103
	v_pk_add_f32 v[78:79], v[78:79], v[86:87]
	v_pk_add_f32 v[124:125], v[124:125], v[126:127]
	v_pk_add_f32 v[126:127], v[46:47], v[48:49] neg_lo:[0,1] neg_hi:[0,1]
	v_pk_add_f32 v[128:129], v[46:47], v[48:49]
	v_mov_b32_e32 v17, v78
	ds_write2_b32 v10, v79, v78 offset1:1
	v_pk_fma_f32 v[78:79], v[82:83], s[4:5], v[98:99]
	v_mul_f32_e32 v70, 0xbe11bafb, v100
	v_mul_f32_e32 v100, 0xbf7d64f0, v84
	v_mov_b32_e32 v127, v128
	v_pk_add_f32 v[78:79], v[104:105], v[78:79]
	v_pk_fma_f32 v[82:83], v[110:111], s[12:13], v[106:107]
	v_pk_add_f32 v[124:125], v[124:125], v[126:127]
	v_pk_add_f32 v[126:127], v[70:71], v[100:101] neg_lo:[0,1] neg_hi:[0,1]
	v_pk_add_f32 v[100:101], v[70:71], v[100:101]
	v_pk_add_f32 v[78:79], v[78:79], v[82:83]
	v_pk_fma_f32 v[80:81], v[80:81], s[14:15], v[96:97]
	v_add_u32_e32 v8, 0x12f4, v103
	v_mov_b32_e32 v127, v100
	v_pk_add_f32 v[78:79], v[78:79], v[80:81]
	v_pk_fma_f32 v[80:81], v[118:119], s[20:21], v[114:115]
	ds_write2_b32 v8, v14, v15 offset1:1
	v_add_u32_e32 v8, 0x12fc, v103
	v_pk_add_f32 v[100:101], v[124:125], v[126:127]
	v_pk_add_f32 v[78:79], v[78:79], v[80:81]
	v_pk_fma_f32 v[80:81], v[84:85], s[16:17], v[120:121]
	ds_write2_b32 v8, v100, v101 offset1:1
	v_add_u32_e32 v8, 0x130c, v103
	v_pk_add_f32 v[78:79], v[78:79], v[80:81]
	ds_write2_b32 v8, v78, v79 offset1:1
.LBB0_17:
	s_or_b64 exec, exec, s[34:35]
	s_movk_i32 s4, 0xffd8
	v_mad_i32_i24 v42, v102, s4, v103
	v_add_u32_e32 v8, 0xa00, v42
	s_waitcnt lgkmcnt(0)
	s_barrier
	ds_read2_b32 v[82:83], v8 offset0:20 offset1:185
	v_add_u32_e32 v8, 0xe00, v42
	v_add_u32_e32 v70, 0xdc, v102
	ds_read2_b32 v[78:79], v8 offset0:39 offset1:149
	v_add_u32_e32 v93, 0x14a, v102
	v_lshl_add_u32 v46, v70, 2, 0
	v_add_u32_e32 v8, 0x1000, v42
	v_add_u32_e32 v98, 0x226, v102
	v_add_u32_e32 v92, 0x1b8, v102
	ds_read2_b32 v[86:87], v42 offset1:110
	v_lshl_add_u32 v48, v93, 2, 0
	ds_read2_b32 v[80:81], v8 offset0:131 offset1:241
	v_lshl_add_u32 v90, v92, 2, 0
	v_lshl_add_u32 v91, v98, 2, 0
	ds_read_b32 v94, v46
	ds_read_b32 v95, v48
	ds_read_b32 v96, v90
	ds_read_b32 v97, v91
	v_add_u32_e32 v8, 0x1400, v42
	ds_read2_b32 v[84:85], v8 offset0:95 offset1:205
	v_mov_b32_e32 v17, v16
	v_mov_b32_e32 v88, v23
	;; [unrolled: 1-line block ×3, first 2 shown]
	v_cmp_gt_u32_e32 vcc, 55, v102
	s_and_saveexec_b64 s[4:5], vcc
	s_cbranch_execz .LBB0_19
; %bb.18:
	ds_read_b32 v14, v42 offset:3080
	ds_read_b32 v15, v42 offset:6380
.LBB0_19:
	s_or_b64 exec, exec, s[4:5]
	v_mov_b32_e32 v104, v53
	v_mov_b32_e32 v105, v54
	s_mov_b32 s12, 0x3ed4b147
	v_add_f32_e32 v10, v45, v37
	v_pk_mul_f32 v[106:107], v[104:105], s[12:13]
	v_add_f32_e32 v36, v10, v49
	v_mov_b32_e32 v19, v106
	v_sub_f32_e32 v10, v106, v107
	v_mov_b32_e32 v106, v65
	v_mov_b32_e32 v107, v68
	s_mov_b32 s17, 0xbf7d64f0
	s_mov_b32 s16, 0xbe11bafb
	v_pk_mul_f32 v[108:109], v[106:107], s[16:17]
	s_mov_b32 s18, 0xbf27a4f4
	v_pk_fma_f32 v[104:105], v[104:105], s[12:13], v[18:19]
	v_mov_b32_e32 v19, v108
	v_sub_f32_e32 v12, v108, v109
	v_mov_b32_e32 v108, v67
	v_mov_b32_e32 v109, v72
	s_mov_b32 s19, 0xbf4178ce
	v_pk_mul_f32 v[110:111], v[108:109], s[18:19]
	v_pk_add_f32 v[36:37], v[36:37], v[50:51]
	v_mov_b32_e32 v113, 0x3f575c64
	v_mov_b32_e32 v112, v41
	v_sub_f32_e32 v8, v71, v47
	v_pk_fma_f32 v[106:107], v[106:107], s[16:17], v[18:19]
	v_mov_b32_e32 v19, v110
	v_pk_add_f32 v[40:41], v[36:37], v[112:113]
	v_pk_mul_f32 v[112:113], v[36:37], v[112:113]
	v_mul_f32_e32 v101, 0xbf0a6770, v8
	v_pk_fma_f32 v[108:109], v[108:109], s[18:19], v[18:19]
	v_mov_b32_e32 v41, v113
	v_mov_b32_e32 v100, v33
	;; [unrolled: 1-line block ×3, first 2 shown]
	v_fmac_f32_e32 v113, 0x3f0a6770, v8
	v_pk_add_f32 v[32:33], v[40:41], v[100:101]
	v_mov_b32_e32 v34, v75
	v_mov_b32_e32 v35, v76
	s_mov_b32 s21, 0xbe903f40
	s_mov_b32 s20, 0xbf75a155
	v_mov_b32_e32 v104, v39
	v_add_f32_e32 v19, v113, v45
	v_pk_add_f32 v[32:33], v[32:33], v[44:45]
	v_pk_mul_f32 v[38:39], v[34:35], s[20:21]
	v_mov_b32_e32 v106, v43
	v_add_f32_e32 v10, v19, v10
	v_pk_add_f32 v[32:33], v[32:33], v[104:105]
	v_mov_b32_e32 v19, v38
	v_pk_add_f32 v[32:33], v[32:33], v[106:107]
	v_pk_fma_f32 v[34:35], v[34:35], s[20:21], v[18:19]
	v_pk_add_f32 v[32:33], v[108:109], v[32:33]
	v_mov_b32_e32 v34, v51
	s_mov_b32 s24, s13
	s_mov_b32 s25, s17
	v_pk_add_f32 v[50:51], v[32:33], v[34:35]
	v_pk_mul_f32 v[32:33], v[8:9], s[24:25] op_sel_hi:[0,1]
	s_mov_b32 s25, 0x3e903f40
	s_mov_b32 s24, s19
	;; [unrolled: 1-line block ×4, first 2 shown]
	v_add_f32_e32 v10, v12, v10
	v_sub_f32_e32 v12, v110, v111
	s_mov_b32 s28, s18
	s_mov_b32 s29, s20
	v_pk_mul_f32 v[34:35], v[54:55], s[24:25] op_sel_hi:[0,1]
	s_mov_b32 s27, 0x3f68dda4
	s_mov_b32 s26, s25
	v_pk_fma_f32 v[104:105], v[36:37], s[34:35], v[32:33] op_sel:[1,0,0]
	v_add_f32_e32 v10, v10, v12
	v_sub_f32_e32 v12, v38, v39
	v_pk_fma_f32 v[38:39], v[52:53], s[28:29], v[34:35] op_sel:[1,0,0]
	s_mov_b32 s30, s20
	s_mov_b32 s31, s12
	v_pk_mul_f32 v[40:41], v[68:69], s[26:27] op_sel_hi:[0,1]
	v_pk_add_f32 v[104:105], v[104:105], v[44:45] op_sel:[0,1]
	s_mov_b32 s5, 0xbf0a6770
	v_pk_fma_f32 v[100:101], v[64:65], s[30:31], v[40:41] op_sel:[1,0,0]
	v_pk_add_f32 v[38:39], v[104:105], v[38:39]
	s_mov_b32 s4, 0x3f7d64f0
	s_mov_b32 s23, 0x3f575c64
	v_pk_add_f32 v[38:39], v[100:101], v[38:39]
	s_mov_b32 s22, s16
	v_pk_mul_f32 v[100:101], v[72:73], s[4:5] op_sel_hi:[0,1]
	s_mov_b32 s14, 0x3f0a6770
	v_pk_fma_f32 v[104:105], v[66:67], s[22:23], v[100:101] op_sel:[1,0,0]
	s_mov_b32 s15, s19
	v_pk_add_f32 v[38:39], v[38:39], v[104:105]
	s_mov_b32 s36, s23
	s_mov_b32 s37, s18
	v_pk_mul_f32 v[104:105], v[76:77], s[14:15] op_sel_hi:[0,1]
	v_pk_fma_f32 v[32:33], v[36:37], s[34:35], v[32:33] op_sel:[1,0,0] neg_lo:[0,0,1] neg_hi:[0,0,1]
	v_pk_fma_f32 v[106:107], v[74:75], s[36:37], v[104:105] op_sel:[1,0,0]
	v_pk_fma_f32 v[34:35], v[52:53], s[28:29], v[34:35] op_sel:[1,0,0] neg_lo:[0,0,1] neg_hi:[0,0,1]
	v_pk_add_f32 v[32:33], v[32:33], v[44:45] op_sel:[0,1]
	v_pk_add_f32 v[106:107], v[106:107], v[38:39]
	v_pk_fma_f32 v[38:39], v[64:65], s[30:31], v[40:41] op_sel:[1,0,0] neg_lo:[0,0,1] neg_hi:[0,0,1]
	v_pk_add_f32 v[32:33], v[32:33], v[34:35]
	v_pk_fma_f32 v[34:35], v[66:67], s[22:23], v[100:101] op_sel:[1,0,0] neg_lo:[0,0,1] neg_hi:[0,0,1]
	v_pk_add_f32 v[32:33], v[38:39], v[32:33]
	s_mov_b32 s38, s19
	v_pk_add_f32 v[32:33], v[32:33], v[34:35]
	v_pk_fma_f32 v[34:35], v[74:75], s[36:37], v[104:105] op_sel:[1,0,0] neg_lo:[0,0,1] neg_hi:[0,0,1]
	s_mov_b32 s39, s21
	v_pk_add_f32 v[100:101], v[34:35], v[32:33]
	v_pk_mul_f32 v[32:33], v[8:9], s[38:39] op_sel_hi:[0,1]
	s_mov_b32 s38, s4
	s_mov_b32 s39, s14
	v_pk_mul_f32 v[34:35], v[54:55], s[38:39] op_sel_hi:[0,1]
	s_mov_b32 s38, s5
	s_mov_b32 s39, s19
	v_pk_mul_f32 v[40:41], v[68:69], s[38:39] op_sel_hi:[0,1]
	v_pk_fma_f32 v[68:69], v[36:37], s[28:29], v[32:33] op_sel:[1,0,0]
	v_pk_fma_f32 v[38:39], v[52:53], s[22:23], v[34:35] op_sel:[1,0,0]
	v_pk_add_f32 v[68:69], v[68:69], v[44:45] op_sel:[0,1]
	v_pk_fma_f32 v[54:55], v[64:65], s[36:37], v[40:41] op_sel:[1,0,0]
	v_pk_add_f32 v[38:39], v[68:69], v[38:39]
	s_mov_b32 s26, s21
	v_pk_add_f32 v[38:39], v[54:55], v[38:39]
	v_pk_mul_f32 v[54:55], v[72:73], s[26:27] op_sel_hi:[0,1]
	v_pk_fma_f32 v[68:69], v[66:67], s[30:31], v[54:55] op_sel:[1,0,0]
	s_mov_b32 s38, s27
	s_mov_b32 s39, s17
	v_pk_add_f32 v[38:39], v[38:39], v[68:69]
	v_pk_mul_f32 v[68:69], v[76:77], s[38:39] op_sel_hi:[0,1]
	v_pk_fma_f32 v[32:33], v[36:37], s[28:29], v[32:33] op_sel:[1,0,0] neg_lo:[0,0,1] neg_hi:[0,0,1]
	v_pk_fma_f32 v[72:73], v[74:75], s[34:35], v[68:69] op_sel:[1,0,0]
	v_pk_fma_f32 v[34:35], v[52:53], s[22:23], v[34:35] op_sel:[1,0,0] neg_lo:[0,0,1] neg_hi:[0,0,1]
	v_pk_add_f32 v[32:33], v[32:33], v[44:45] op_sel:[0,1]
	v_pk_add_f32 v[72:73], v[72:73], v[38:39]
	v_pk_fma_f32 v[38:39], v[64:65], s[36:37], v[40:41] op_sel:[1,0,0] neg_lo:[0,0,1] neg_hi:[0,0,1]
	v_pk_add_f32 v[32:33], v[32:33], v[34:35]
	v_pk_fma_f32 v[34:35], v[66:67], s[30:31], v[54:55] op_sel:[1,0,0] neg_lo:[0,0,1] neg_hi:[0,0,1]
	v_pk_add_f32 v[32:33], v[38:39], v[32:33]
	s_mov_b32 s30, s17
	v_pk_add_f32 v[32:33], v[32:33], v[34:35]
	v_pk_fma_f32 v[34:35], v[74:75], s[34:35], v[68:69] op_sel:[1,0,0] neg_lo:[0,0,1] neg_hi:[0,0,1]
	s_mov_b32 s31, s19
	v_pk_add_f32 v[44:45], v[34:35], v[32:33]
	v_pk_add_f32 v[32:33], v[0:1], v[28:29]
	v_pk_add_f32 v[22:23], v[22:23], v[24:25] neg_lo:[0,1] neg_hi:[0,1]
	v_pk_add_f32 v[30:31], v[32:33], v[30:31]
	s_mov_b32 s28, s16
	v_sub_f32_e32 v30, v28, v18
	v_mov_b32_e32 v28, v31
	v_pk_add_f32 v[32:33], v[28:29], v[6:7]
	s_mov_b32 s29, s18
	v_pk_mul_f32 v[24:25], v[30:31], s[30:31] op_sel_hi:[0,1]
	s_mov_b32 s30, s25
	s_mov_b32 s31, s4
	v_sub_f32_e32 v38, v20, v26
	v_pk_fma_f32 v[18:19], v[32:33], s[28:29], v[24:25] op_sel:[1,0,0]
	s_mov_b32 s34, s20
	v_pk_mul_f32 v[26:27], v[58:59], s[30:31] op_sel_hi:[0,1]
	v_pk_add_f32 v[18:19], v[0:1], v[18:19] op_sel:[1,0]
	v_pk_fma_f32 v[28:29], v[62:63], s[34:35], v[26:27] op_sel:[1,0,0]
	s_mov_b32 s30, s27
	s_mov_b32 s31, s5
	v_pk_add_f32 v[40:41], v[6:7], v[16:17]
	v_pk_add_f32 v[18:19], v[18:19], v[28:29]
	s_mov_b32 s22, s12
	v_pk_mul_f32 v[28:29], v[38:39], s[30:31] op_sel_hi:[0,1]
	v_pk_fma_f32 v[34:35], v[40:41], s[22:23], v[28:29] op_sel_hi:[0,1,1]
	s_mov_b32 s31, s20
	s_mov_b32 s20, s5
	v_pk_add_f32 v[18:19], v[18:19], v[34:35]
	s_mov_b32 s30, s23
	v_pk_mul_f32 v[34:35], v[56:57], s[20:21] op_sel_hi:[0,1]
	v_pk_fma_f32 v[36:37], v[60:61], s[30:31], v[34:35] op_sel:[1,0,0]
	s_mov_b32 s26, s19
	v_pk_add_f32 v[20:21], v[88:89], v[0:1]
	v_pk_add_f32 v[18:19], v[18:19], v[36:37]
	s_mov_b32 s36, s18
	s_mov_b32 s37, s12
	v_pk_mul_f32 v[36:37], v[22:23], s[26:27] op_sel_hi:[0,1]
	v_pk_fma_f32 v[52:53], v[20:21], s[36:37], v[36:37] op_sel_hi:[0,1,1]
	v_pk_add_f32 v[18:19], v[18:19], v[52:53]
	v_add_f32_e32 v10, v12, v10
	s_waitcnt lgkmcnt(0)
	s_barrier
	ds_write2_b32 v103, v50, v51 offset1:1
	ds_write2_b32 v103, v106, v107 offset0:2 offset1:3
	ds_write2_b32 v103, v72, v73 offset0:4 offset1:5
	;; [unrolled: 1-line block ×3, first 2 shown]
	v_mov_b32_e32 v6, v101
	v_mov_b32_e32 v17, v100
	ds_write2_b32 v103, v101, v100 offset0:8 offset1:9
	ds_write_b32 v103, v10 offset:40
	s_and_saveexec_b64 s[26:27], s[2:3]
	s_cbranch_execz .LBB0_21
; %bb.20:
	v_mov_b32_e32 v31, v30
	v_pk_mul_f32 v[74:75], v[60:61], s[30:31] op_sel:[1,0]
	v_mov_b32_e32 v60, v13
	s_mov_b32 s2, s13
	s_mov_b32 s3, s5
	v_mov_b32_e32 v44, v63
	v_mov_b32_e32 v45, v63
	;; [unrolled: 1-line block ×3, first 2 shown]
	v_pk_mul_f32 v[68:69], v[62:63], s[34:35] op_sel:[1,0]
	v_mul_f32_e32 v8, 0x3f575c64, v63
	v_pk_add_f32 v[62:63], v[32:33], v[60:61]
	v_pk_mul_f32 v[100:101], v[32:33], s[22:23]
	v_pk_mul_f32 v[106:107], v[30:31], s[2:3]
	s_mov_b32 s12, s19
	v_mov_b32_e32 v39, v38
	v_mul_f32_e32 v10, 0x3f0a6770, v58
	v_mov_b32_e32 v63, v101
	v_pk_mul_f32 v[58:59], v[58:59], s[12:13]
	s_mov_b32 s16, s25
	v_mov_b32_e32 v89, v107
	v_mov_b32_e32 v50, v40
	;; [unrolled: 1-line block ×3, first 2 shown]
	v_pk_mul_f32 v[72:73], v[40:41], s[22:23] op_sel_hi:[0,1]
	v_mul_f32_e32 v12, 0xbf27a4f4, v40
	v_mul_f32_e32 v40, 0xbf4178ce, v38
	v_pk_fma_f32 v[108:109], v[44:45], s[36:37], v[58:59]
	v_pk_mul_f32 v[38:39], v[38:39], s[16:17]
	v_pk_add_f32 v[88:89], v[62:63], v[88:89]
	v_pk_fma_f32 v[44:45], v[44:45], s[36:37], v[58:59] neg_lo:[0,0,1] neg_hi:[0,0,1]
	v_pk_fma_f32 v[58:59], v[50:51], s[34:35], v[38:39]
	v_pk_add_f32 v[88:89], v[88:89], v[0:1]
	v_mov_b32_e32 v110, v11
	v_mov_b32_e32 v111, v109
	v_pk_mul_f32 v[66:67], v[32:33], s[28:29] op_sel:[1,0]
	v_mul_f32_e32 v32, 0x3ed4b147, v33
	v_mul_f32_e32 v60, 0xbf75a155, v33
	v_pk_add_f32 v[88:89], v[110:111], v[88:89]
	v_mov_b32_e32 v17, v59
	v_fmac_f32_e32 v106, 0x3ed4b147, v33
	v_mov_b32_e32 v33, v101
	v_mov_b32_e32 v54, v1
	;; [unrolled: 1-line block ×3, first 2 shown]
	v_pk_add_f32 v[16:17], v[16:17], v[88:89]
	v_mov_b32_e32 v88, v9
	v_add_f32_e32 v9, v1, v106
	v_pk_fma_f32 v[0:1], v[30:31], s[2:3], v[32:33] neg_lo:[1,0,0] neg_hi:[1,0,0]
	v_mov_b32_e32 v57, v56
	s_mov_b32 s5, s19
	v_pk_add_f32 v[0:1], v[54:55], v[0:1]
	v_pk_add_f32 v[24:25], v[66:67], v[24:25] neg_lo:[0,1] neg_hi:[0,1]
	v_mov_b32_e32 v52, v61
	v_mov_b32_e32 v53, v61
	v_pk_fma_f32 v[38:39], v[50:51], s[34:35], v[38:39] neg_lo:[0,0,1] neg_hi:[0,0,1]
	v_pk_mul_f32 v[50:51], v[56:57], s[4:5]
	v_pk_add_f32 v[0:1], v[0:1], v[44:45]
	v_pk_add_f32 v[24:25], v[54:55], v[24:25]
	v_pk_add_f32 v[26:27], v[68:69], v[26:27] neg_lo:[0,1] neg_hi:[0,1]
	v_mov_b32_e32 v23, v22
	v_mul_f32_e32 v6, 0xbe903f40, v30
	v_add_f32_e32 v9, v9, v108
	v_pk_add_f32 v[0:1], v[0:1], v[38:39]
	v_pk_fma_f32 v[30:31], v[52:53], s[28:29], v[50:51] neg_lo:[0,0,1] neg_hi:[0,0,1]
	s_mov_b32 s15, s21
	v_pk_add_f32 v[24:25], v[24:25], v[26:27]
	v_pk_add_f32 v[26:27], v[72:73], v[28:29] neg_lo:[0,1] neg_hi:[0,1]
	v_mov_b32_e32 v64, v20
	v_mov_b32_e32 v65, v20
	v_pk_mul_f32 v[76:77], v[20:21], s[36:37] op_sel_hi:[0,1]
	v_mul_f32_e32 v104, 0x3f68dda4, v56
	v_pk_fma_f32 v[56:57], v[52:53], s[28:29], v[50:51]
	v_add_f32_e32 v9, v9, v58
	v_pk_add_f32 v[0:1], v[0:1], v[30:31]
	v_pk_mul_f32 v[30:31], v[22:23], s[14:15]
	v_pk_add_f32 v[24:25], v[24:25], v[26:27]
	v_pk_add_f32 v[26:27], v[74:75], v[34:35] neg_lo:[0,1] neg_hi:[0,1]
	v_add_f32_e32 v9, v9, v56
	v_pk_fma_f32 v[32:33], v[64:65], s[30:31], v[30:31]
	v_pk_add_f32 v[24:25], v[24:25], v[26:27]
	v_pk_add_f32 v[26:27], v[76:77], v[36:37] neg_lo:[0,1] neg_hi:[0,1]
	v_add_f32_e32 v13, v9, v32
	v_pk_add_f32 v[24:25], v[24:25], v[26:27]
	v_pk_add_f32 v[26:27], v[8:9], v[10:11]
	v_pk_add_f32 v[8:9], v[8:9], v[10:11] neg_lo:[0,1] neg_hi:[0,1]
	v_pk_add_f32 v[10:11], v[12:13], v[40:41] neg_lo:[0,1] neg_hi:[0,1]
	v_mov_b32_e32 v27, v8
	v_pk_add_f32 v[8:9], v[12:13], v[40:41]
	v_mov_b32_e32 v38, v7
	v_mov_b32_e32 v9, v10
	v_pk_add_f32 v[10:11], v[60:61], v[6:7]
	v_pk_add_f32 v[6:7], v[60:61], v[6:7] neg_lo:[0,1] neg_hi:[0,1]
	v_mul_f32_e32 v100, 0x3ed4b147, v61
	v_mov_b32_e32 v11, v6
	v_pk_add_f32 v[6:7], v[54:55], v[10:11]
	v_pk_add_f32 v[10:11], v[100:101], v[104:105] neg_lo:[0,1] neg_hi:[0,1]
	v_pk_add_f32 v[6:7], v[6:7], v[26:27]
	v_mul_f32_e32 v20, 0xbe11bafb, v20
	v_pk_add_f32 v[6:7], v[6:7], v[8:9]
	v_pk_add_f32 v[8:9], v[100:101], v[104:105]
	v_mul_f32_e32 v22, 0xbf7d64f0, v22
	v_mov_b32_e32 v9, v10
	v_mov_b32_e32 v89, v57
	v_pk_add_f32 v[6:7], v[6:7], v[8:9]
	v_pk_add_f32 v[8:9], v[20:21], v[22:23]
	v_pk_add_f32 v[10:11], v[20:21], v[22:23] neg_lo:[0,1] neg_hi:[0,1]
	v_pk_add_f32 v[16:17], v[88:89], v[16:17]
	v_mov_b32_e32 v39, v33
	v_mov_b32_e32 v9, v10
	v_pk_add_f32 v[16:17], v[38:39], v[16:17]
	v_pk_add_f32 v[6:7], v[6:7], v[8:9]
	v_add_u32_e32 v8, 0x12e8, v103
	ds_write2_b32 v8, v16, v17 offset1:1
	ds_write_b32 v103, v13 offset:4848
	v_add_u32_e32 v8, 0x12f4, v103
	v_pk_fma_f32 v[30:31], v[64:65], s[30:31], v[30:31] neg_lo:[0,0,1] neg_hi:[0,0,1]
	ds_write2_b32 v8, v18, v19 offset1:1
	v_add_u32_e32 v8, 0x12fc, v103
	v_pk_add_f32 v[0:1], v[0:1], v[30:31]
	ds_write2_b32 v8, v6, v7 offset1:1
	v_add_u32_e32 v8, 0x1304, v103
	v_add_u32_e32 v6, 0x130c, v103
	ds_write2_b32 v8, v25, v24 offset1:1
	ds_write2_b32 v6, v0, v1 offset1:1
.LBB0_21:
	s_or_b64 exec, exec, s[26:27]
	v_add_u32_e32 v8, 0xe00, v42
	s_waitcnt lgkmcnt(0)
	s_barrier
	v_add_u32_e32 v0, 0xa00, v42
	ds_read2_b32 v[12:13], v8 offset0:39 offset1:149
	v_add_u32_e32 v8, 0x1000, v42
	ds_read2_b32 v[6:7], v42 offset1:110
	ds_read2_b32 v[0:1], v0 offset0:20 offset1:185
	ds_read2_b32 v[8:9], v8 offset0:131 offset1:241
	ds_read_b32 v38, v46
	ds_read_b32 v37, v48
	;; [unrolled: 1-line block ×4, first 2 shown]
	v_add_u32_e32 v10, 0x1400, v42
	ds_read2_b32 v[10:11], v10 offset0:95 offset1:205
	s_and_saveexec_b64 s[2:3], vcc
	s_cbranch_execz .LBB0_23
; %bb.22:
	ds_read_b32 v18, v42 offset:3080
	ds_read_b32 v19, v42 offset:6380
.LBB0_23:
	s_or_b64 exec, exec, s[2:3]
	s_movk_i32 s2, 0x75
	v_mul_lo_u16_sdwa v17, v102, s2 dst_sel:DWORD dst_unused:UNUSED_PAD src0_sel:BYTE_0 src1_sel:DWORD
	v_sub_u16_sdwa v20, v102, v17 dst_sel:DWORD dst_unused:UNUSED_PAD src0_sel:DWORD src1_sel:BYTE_1
	v_lshrrev_b16_e32 v20, 1, v20
	v_add_u32_e32 v34, 0x6e, v102
	v_and_b32_e32 v20, 0x7f, v20
	v_add_u16_sdwa v17, v20, v17 dst_sel:DWORD dst_unused:UNUSED_PAD src0_sel:DWORD src1_sel:BYTE_1
	v_mul_lo_u16_sdwa v20, v34, s2 dst_sel:DWORD dst_unused:UNUSED_PAD src0_sel:BYTE_0 src1_sel:DWORD
	v_sub_u16_sdwa v21, v34, v20 dst_sel:DWORD dst_unused:UNUSED_PAD src0_sel:DWORD src1_sel:BYTE_1
	v_lshrrev_b16_e32 v21, 1, v21
	v_and_b32_e32 v21, 0x7f, v21
	v_add_u16_sdwa v20, v21, v20 dst_sel:DWORD dst_unused:UNUSED_PAD src0_sel:DWORD src1_sel:BYTE_1
	v_lshrrev_b16_e32 v43, 3, v20
	v_mul_lo_u16_e32 v20, 11, v43
	s_mov_b32 s2, 0xba2f
	v_sub_u16_e32 v44, v34, v20
	v_mul_u32_u24_sdwa v20, v92, s2 dst_sel:DWORD dst_unused:UNUSED_PAD src0_sel:WORD_0 src1_sel:DWORD
	v_lshrrev_b32_e32 v45, 19, v20
	v_mul_lo_u16_e32 v20, 11, v45
	v_sub_u16_e32 v47, v92, v20
	v_mul_u32_u24_sdwa v20, v98, s2 dst_sel:DWORD dst_unused:UNUSED_PAD src0_sel:WORD_0 src1_sel:DWORD
	v_lshrrev_b32_e32 v49, 19, v20
	v_add_u32_e32 v16, 0x294, v102
	v_mul_lo_u16_e32 v20, 11, v49
	v_sub_u16_e32 v50, v98, v20
	v_mul_u32_u24_sdwa v20, v16, s2 dst_sel:DWORD dst_unused:UNUSED_PAD src0_sel:WORD_0 src1_sel:DWORD
	v_lshrrev_b32_e32 v51, 19, v20
	v_mul_u32_u24_sdwa v26, v70, s2 dst_sel:DWORD dst_unused:UNUSED_PAD src0_sel:WORD_0 src1_sel:DWORD
	v_mul_lo_u16_e32 v20, 11, v51
	v_lshrrev_b16_e32 v39, 3, v17
	v_lshlrev_b32_e32 v27, 3, v47
	v_sub_u16_e32 v52, v16, v20
	v_lshrrev_b32_e32 v53, 19, v26
	v_mul_u32_u24_sdwa v26, v93, s2 dst_sel:DWORD dst_unused:UNUSED_PAD src0_sel:WORD_0 src1_sel:DWORD
	v_mul_lo_u16_e32 v17, 11, v39
	v_lshlrev_b32_e32 v28, 3, v50
	v_lshlrev_b32_e32 v16, 3, v52
	global_load_dwordx2 v[24:25], v27, s[8:9]
	global_load_dwordx2 v[22:23], v28, s[8:9]
	;; [unrolled: 1-line block ×3, first 2 shown]
	v_lshrrev_b32_e32 v55, 19, v26
	v_sub_u16_e32 v40, v102, v17
	v_mov_b32_e32 v17, 3
	v_mul_lo_u16_e32 v16, 11, v53
	v_mul_lo_u16_e32 v26, 11, v55
	v_lshlrev_b32_sdwa v41, v17, v40 dst_sel:DWORD dst_unused:UNUSED_PAD src0_sel:DWORD src1_sel:BYTE_0
	v_sub_u16_e32 v54, v70, v16
	v_sub_u16_e32 v56, v93, v26
	v_lshlrev_b32_sdwa v17, v17, v44 dst_sel:DWORD dst_unused:UNUSED_PAD src0_sel:DWORD src1_sel:BYTE_0
	v_lshlrev_b32_e32 v16, 3, v54
	v_lshlrev_b32_e32 v57, 3, v56
	global_load_dwordx2 v[32:33], v41, s[8:9]
	global_load_dwordx2 v[30:31], v17, s[8:9]
	;; [unrolled: 1-line block ×4, first 2 shown]
	v_add_u32_e32 v16, 0x302, v102
	v_mul_u32_u24_sdwa v17, v16, s2 dst_sel:DWORD dst_unused:UNUSED_PAD src0_sel:WORD_0 src1_sel:DWORD
	v_lshrrev_b32_e32 v57, 19, v17
	v_mul_lo_u16_e32 v17, 11, v57
	v_sub_u16_e32 v58, v16, v17
	v_lshlrev_b32_e32 v16, 3, v58
	global_load_dwordx2 v[16:17], v16, s[8:9]
	v_mov_b32_e32 v73, 2
	v_mul_u32_u24_e32 v39, 0x58, v39
	v_lshlrev_b32_sdwa v40, v73, v40 dst_sel:DWORD dst_unused:UNUSED_PAD src0_sel:DWORD src1_sel:BYTE_0
	v_add3_u32 v39, 0, v39, v40
	s_waitcnt lgkmcnt(0)
	s_barrier
	v_mul_u32_u24_e32 v40, 0x58, v43
	s_mov_b32 s3, 0x5040100
	s_movk_i32 s2, 0x58
	v_lshlrev_b32_e32 v47, 2, v47
	s_waitcnt vmcnt(7)
	v_mul_f32_e32 v41, v9, v25
	v_fma_f32 v41, v81, v24, -v41
	v_sub_f32_e32 v61, v96, v41
	s_waitcnt vmcnt(6)
	v_mul_f32_e32 v59, v10, v23
	s_waitcnt vmcnt(5)
	v_mul_f32_e32 v60, v11, v21
	v_fma_f32 v59, v84, v22, -v59
	v_fma_f32 v60, v85, v20, -v60
	v_sub_f32_e32 v59, v97, v59
	v_sub_f32_e32 v60, v82, v60
	v_fma_f32 v62, v96, 2.0, -v61
	v_fma_f32 v63, v97, 2.0, -v59
	s_waitcnt vmcnt(4)
	v_mul_f32_e32 v41, v1, v33
	v_fma_f32 v41, v83, v32, -v41
	v_sub_f32_e32 v41, v86, v41
	v_fma_f32 v68, v86, 2.0, -v41
	ds_write2_b32 v39, v68, v41 offset1:11
	v_lshlrev_b32_sdwa v41, v73, v44 dst_sel:DWORD dst_unused:UNUSED_PAD src0_sel:DWORD src1_sel:BYTE_0
	v_add3_u32 v40, 0, v40, v41
	v_perm_b32 v41, v55, v53, s3
	v_pk_mul_lo_u16 v43, v41, s2 op_sel_hi:[1,0]
	v_lshlrev_b32_e32 v44, 2, v54
	v_and_b32_e32 v41, 0xfff8, v43
	v_add3_u32 v41, 0, v41, v44
	v_lshrrev_b32_e32 v43, 16, v43
	v_lshlrev_b32_e32 v44, 2, v56
	v_add3_u32 v43, 0, v43, v44
	v_perm_b32 v44, v49, v45, s3
	v_pk_mul_lo_u16 v44, v44, s2 op_sel_hi:[1,0]
	s_waitcnt vmcnt(3)
	v_mul_f32_e32 v65, v12, v31
	s_waitcnt vmcnt(2)
	v_mul_f32_e32 v66, v13, v29
	;; [unrolled: 2-line block ×3, first 2 shown]
	v_and_b32_e32 v45, 0xfff8, v44
	v_fma_f32 v65, v78, v30, -v65
	v_fma_f32 v66, v79, v28, -v66
	;; [unrolled: 1-line block ×3, first 2 shown]
	v_add3_u32 v47, 0, v45, v47
	v_lshrrev_b32_e32 v44, 16, v44
	v_lshlrev_b32_e32 v45, 2, v50
	v_sub_f32_e32 v65, v87, v65
	v_sub_f32_e32 v66, v94, v66
	;; [unrolled: 1-line block ×3, first 2 shown]
	v_add3_u32 v49, 0, v44, v45
	v_mul_u32_u24_e32 v44, 0x58, v51
	v_lshlrev_b32_e32 v45, 2, v52
	v_fma_f32 v64, v82, 2.0, -v60
	v_fma_f32 v69, v87, 2.0, -v65
	;; [unrolled: 1-line block ×4, first 2 shown]
	v_add3_u32 v50, 0, v44, v45
	v_mul_lo_u16_e32 v44, 22, v57
	v_lshlrev_b32_e32 v45, 2, v58
	ds_write2_b32 v40, v69, v65 offset1:11
	ds_write2_b32 v41, v71, v66 offset1:11
	;; [unrolled: 1-line block ×6, first 2 shown]
	s_and_saveexec_b64 s[2:3], vcc
	s_cbranch_execz .LBB0_25
; %bb.24:
	s_waitcnt vmcnt(0)
	v_mul_f32_e32 v51, v19, v17
	v_fma_f32 v51, v15, v16, -v51
	v_sub_f32_e32 v51, v14, v51
	v_lshlrev_b32_e32 v52, 2, v44
	v_fma_f32 v14, v14, 2.0, -v51
	v_add3_u32 v52, 0, v45, v52
	ds_write2_b32 v52, v14, v51 offset1:11
.LBB0_25:
	s_or_b64 exec, exec, s[2:3]
	v_mul_f32_e32 v14, v83, v33
	v_fmac_f32_e32 v14, v1, v32
	v_mul_f32_e32 v1, v78, v31
	v_fmac_f32_e32 v1, v12, v30
	;; [unrolled: 2-line block ×7, first 2 shown]
	v_sub_f32_e32 v28, v6, v14
	v_sub_f32_e32 v30, v7, v1
	;; [unrolled: 1-line block ×4, first 2 shown]
	v_add_u32_e32 v14, 0x1000, v42
	v_add_u32_e32 v21, 0xa00, v42
	v_add_u32_e32 v20, 0x1400, v42
	v_add_u32_e32 v24, 0xc00, v42
	v_fma_f32 v29, v6, 2.0, -v28
	v_fma_f32 v31, v7, 2.0, -v30
	;; [unrolled: 1-line block ×3, first 2 shown]
	v_sub_f32_e32 v38, v37, v13
	v_sub_f32_e32 v51, v36, v8
	;; [unrolled: 1-line block ×3, first 2 shown]
	v_fma_f32 v54, v0, 2.0, -v53
	s_waitcnt lgkmcnt(0)
	s_barrier
	ds_read2_b32 v[0:1], v42 offset1:110
	ds_read2_b32 v[6:7], v14 offset0:76 offset1:186
	ds_read2_b32 v[8:9], v21 offset0:20 offset1:130
	;; [unrolled: 1-line block ×3, first 2 shown]
	ds_read_b32 v23, v48
	ds_read2_b32 v[12:13], v24 offset0:112 offset1:222
	ds_read_b32 v26, v91
	ds_read_b32 v22, v90
	;; [unrolled: 1-line block ×3, first 2 shown]
	ds_read_b32 v27, v42 offset:6160
	v_fma_f32 v37, v37, 2.0, -v38
	v_fma_f32 v36, v36, 2.0, -v51
	;; [unrolled: 1-line block ×3, first 2 shown]
	s_waitcnt lgkmcnt(0)
	s_barrier
	ds_write2_b32 v39, v29, v28 offset1:11
	ds_write2_b32 v40, v31, v30 offset1:11
	;; [unrolled: 1-line block ×7, first 2 shown]
	s_and_saveexec_b64 s[2:3], vcc
	s_cbranch_execz .LBB0_27
; %bb.26:
	s_waitcnt vmcnt(0)
	v_mul_f32_e32 v15, v15, v17
	v_fmac_f32_e32 v15, v19, v16
	v_sub_f32_e32 v15, v18, v15
	v_lshlrev_b32_e32 v17, 2, v44
	v_fma_f32 v16, v18, 2.0, -v15
	v_add3_u32 v17, 0, v45, v17
	ds_write2_b32 v17, v16, v15 offset1:11
.LBB0_27:
	s_or_b64 exec, exec, s[2:3]
	v_lshrrev_b16_e32 v15, 1, v102
	v_and_b32_e32 v15, 0x7f, v15
	v_mul_lo_u16_e32 v15, 0xbb, v15
	v_lshrrev_b16_e32 v15, 11, v15
	s_waitcnt vmcnt(0)
	v_mul_lo_u16_e32 v16, 22, v15
	s_mov_b32 s2, 0xba2f
	v_sub_u16_e32 v35, v102, v16
	v_mov_b32_e32 v40, 1
	v_mul_u32_u24_sdwa v16, v70, s2 dst_sel:DWORD dst_unused:UNUSED_PAD src0_sel:WORD_0 src1_sel:DWORD
	v_lshrrev_b32_e32 v43, 20, v16
	v_mul_u32_u24_sdwa v36, v92, s2 dst_sel:DWORD dst_unused:UNUSED_PAD src0_sel:WORD_0 src1_sel:DWORD
	v_lshrrev_b16_sdwa v40, v40, v34 dst_sel:DWORD dst_unused:UNUSED_PAD src0_sel:DWORD src1_sel:BYTE_0
	v_mov_b32_e32 v32, 4
	v_mul_lo_u16_e32 v16, 22, v43
	v_mul_u32_u24_sdwa v17, v93, s2 dst_sel:DWORD dst_unused:UNUSED_PAD src0_sel:WORD_0 src1_sel:DWORD
	v_lshrrev_b32_e32 v63, 20, v36
	v_mul_lo_u16_e32 v40, 0xbb, v40
	v_lshlrev_b32_sdwa v33, v32, v35 dst_sel:DWORD dst_unused:UNUSED_PAD src0_sel:DWORD src1_sel:BYTE_0
	v_sub_u16_e32 v47, v70, v16
	v_lshrrev_b32_e32 v49, 20, v17
	v_mul_lo_u16_e32 v36, 22, v63
	v_lshrrev_b16_e32 v65, 11, v40
	s_waitcnt lgkmcnt(0)
	s_barrier
	v_lshlrev_b32_e32 v16, 4, v47
	v_mul_lo_u16_e32 v17, 22, v49
	v_sub_u16_e32 v64, v92, v36
	global_load_dwordx4 v[50:53], v33, s[8:9] offset:88
	v_mul_lo_u16_e32 v33, 22, v65
	v_sub_u16_e32 v62, v93, v17
	global_load_dwordx4 v[16:19], v16, s[8:9] offset:88
	v_lshlrev_b32_e32 v36, 4, v64
	v_sub_u16_e32 v66, v34, v33
	v_lshlrev_b32_e32 v28, 4, v62
	global_load_dwordx4 v[28:31], v28, s[8:9] offset:88
	v_lshlrev_b32_sdwa v32, v32, v66 dst_sel:DWORD dst_unused:UNUSED_PAD src0_sel:DWORD src1_sel:BYTE_0
	global_load_dwordx4 v[36:39], v36, s[8:9] offset:88
	s_mov_b32 s3, 0x5040100
	global_load_dwordx4 v[54:57], v32, s[8:9] offset:88
	ds_read2_b32 v[32:33], v42 offset1:110
	ds_read2_b32 v[40:41], v14 offset0:76 offset1:186
	ds_read2_b32 v[44:45], v21 offset0:20 offset1:130
	;; [unrolled: 1-line block ×3, first 2 shown]
	ds_read_b32 v67, v48
	ds_read2_b32 v[60:61], v24 offset0:112 offset1:222
	ds_read_b32 v68, v91
	ds_read_b32 v69, v90
	ds_read_b32 v71, v46
	ds_read_b32 v72, v42 offset:6160
	s_waitcnt lgkmcnt(0)
	s_barrier
	s_movk_i32 s2, 0x108
	s_mov_b32 s4, 0x3f167918
	s_mov_b32 s12, 0x3e9e377a
	s_waitcnt vmcnt(4)
	v_mul_f32_e32 v79, v68, v51
	v_mul_f32_e32 v80, v40, v53
	;; [unrolled: 1-line block ×3, first 2 shown]
	s_waitcnt vmcnt(3)
	v_mul_f32_e32 v74, v58, v19
	v_mul_f32_e32 v19, v10, v19
	;; [unrolled: 1-line block ×5, first 2 shown]
	v_fma_f32 v10, v10, v18, -v74
	s_waitcnt vmcnt(1)
	v_mul_f32_e32 v78, v72, v39
	v_fmac_f32_e32 v19, v58, v18
	v_fma_f32 v18, v26, v50, -v79
	v_fma_f32 v6, v6, v52, -v80
	v_mul_f32_e32 v76, v59, v31
	v_mul_f32_e32 v31, v11, v31
	;; [unrolled: 1-line block ×3, first 2 shown]
	s_waitcnt vmcnt(0)
	v_mul_f32_e32 v81, v44, v55
	v_mul_f32_e32 v82, v41, v57
	v_fma_f32 v9, v9, v16, -v73
	v_fmac_f32_e32 v17, v45, v16
	v_fma_f32 v16, v27, v38, -v78
	v_fmac_f32_e32 v51, v68, v50
	v_fmac_f32_e32 v53, v40, v52
	v_add_f32_e32 v27, v18, v6
	v_mul_f32_e32 v75, v60, v29
	v_mul_f32_e32 v29, v12, v29
	;; [unrolled: 1-line block ×4, first 2 shown]
	v_fma_f32 v11, v11, v30, -v76
	v_fmac_f32_e32 v31, v59, v30
	v_fma_f32 v8, v8, v54, -v81
	v_fma_f32 v7, v7, v56, -v82
	v_add_f32_e32 v26, v0, v18
	v_fma_f32 v0, -0.5, v27, v0
	v_sub_f32_e32 v27, v51, v53
	v_add_f32_e32 v30, v51, v53
	v_fma_f32 v12, v12, v28, -v75
	v_fmac_f32_e32 v29, v60, v28
	v_fmac_f32_e32 v55, v44, v54
	;; [unrolled: 1-line block ×3, first 2 shown]
	v_add_f32_e32 v26, v26, v6
	v_fmamk_f32 v28, v27, 0x3f5db3d7, v0
	v_fmac_f32_e32 v0, 0xbf5db3d7, v27
	v_add_f32_e32 v27, v32, v51
	v_fma_f32 v30, -0.5, v30, v32
	v_sub_f32_e32 v6, v18, v6
	v_add_f32_e32 v32, v8, v7
	v_mul_f32_e32 v77, v61, v37
	v_mul_f32_e32 v37, v13, v37
	v_fmac_f32_e32 v39, v72, v38
	v_fmamk_f32 v18, v6, 0xbf5db3d7, v30
	v_fmac_f32_e32 v30, 0x3f5db3d7, v6
	v_add_f32_e32 v6, v1, v8
	v_fmac_f32_e32 v1, -0.5, v32
	v_sub_f32_e32 v32, v55, v57
	v_add_f32_e32 v38, v55, v57
	v_fma_f32 v13, v13, v36, -v77
	v_fmac_f32_e32 v37, v61, v36
	v_add_f32_e32 v6, v6, v7
	v_fmamk_f32 v36, v32, 0x3f5db3d7, v1
	v_fmac_f32_e32 v1, 0xbf5db3d7, v32
	v_add_f32_e32 v32, v33, v55
	v_fmac_f32_e32 v33, -0.5, v38
	v_sub_f32_e32 v7, v8, v7
	v_add_f32_e32 v38, v9, v10
	v_fmamk_f32 v8, v7, 0xbf5db3d7, v33
	v_fmac_f32_e32 v33, 0x3f5db3d7, v7
	v_add_f32_e32 v7, v25, v9
	v_fmac_f32_e32 v25, -0.5, v38
	v_sub_f32_e32 v38, v17, v19
	v_fmamk_f32 v40, v38, 0x3f5db3d7, v25
	v_fmac_f32_e32 v25, 0xbf5db3d7, v38
	v_add_f32_e32 v38, v71, v17
	v_add_f32_e32 v17, v17, v19
	v_fmac_f32_e32 v71, -0.5, v17
	v_sub_f32_e32 v9, v9, v10
	v_add_f32_e32 v17, v12, v11
	v_add_f32_e32 v7, v7, v10
	v_fmamk_f32 v10, v9, 0xbf5db3d7, v71
	v_fmac_f32_e32 v71, 0x3f5db3d7, v9
	v_add_f32_e32 v9, v23, v12
	v_fmac_f32_e32 v23, -0.5, v17
	v_sub_f32_e32 v17, v29, v31
	v_add_f32_e32 v38, v38, v19
	v_fmamk_f32 v19, v17, 0x3f5db3d7, v23
	v_fmac_f32_e32 v23, 0xbf5db3d7, v17
	v_add_f32_e32 v17, v67, v29
	v_add_f32_e32 v29, v29, v31
	;; [unrolled: 1-line block ×3, first 2 shown]
	v_fmac_f32_e32 v67, -0.5, v29
	v_sub_f32_e32 v11, v12, v11
	v_add_f32_e32 v29, v13, v16
	v_fmamk_f32 v12, v11, 0xbf5db3d7, v67
	v_fmac_f32_e32 v67, 0x3f5db3d7, v11
	v_add_f32_e32 v11, v22, v13
	v_fmac_f32_e32 v22, -0.5, v29
	v_sub_f32_e32 v29, v37, v39
	v_add_f32_e32 v17, v17, v31
	v_fmamk_f32 v31, v29, 0x3f5db3d7, v22
	v_fmac_f32_e32 v22, 0xbf5db3d7, v29
	v_add_f32_e32 v29, v69, v37
	v_add_f32_e32 v37, v37, v39
	v_fmac_f32_e32 v69, -0.5, v37
	v_sub_f32_e32 v13, v13, v16
	v_add_f32_e32 v11, v11, v16
	v_fmamk_f32 v16, v13, 0xbf5db3d7, v69
	v_fmac_f32_e32 v69, 0x3f5db3d7, v13
	v_mul_u32_u24_e32 v13, 0x108, v15
	v_mov_b32_e32 v15, 2
	v_lshlrev_b32_sdwa v35, v15, v35 dst_sel:DWORD dst_unused:UNUSED_PAD src0_sel:DWORD src1_sel:BYTE_0
	v_add3_u32 v13, 0, v13, v35
	ds_write2_b32 v13, v26, v28 offset1:22
	ds_write_b32 v13, v0 offset:176
	v_mul_u32_u24_e32 v0, 0x108, v65
	v_lshlrev_b32_sdwa v26, v15, v66 dst_sel:DWORD dst_unused:UNUSED_PAD src0_sel:DWORD src1_sel:BYTE_0
	v_add3_u32 v0, 0, v0, v26
	ds_write2_b32 v0, v6, v36 offset1:22
	ds_write_b32 v0, v1 offset:176
	v_perm_b32 v1, v49, v43, s3
	v_pk_mul_lo_u16 v1, v1, s2 op_sel_hi:[1,0]
	v_lshlrev_b32_e32 v26, 2, v47
	v_and_b32_e32 v6, 0xfff8, v1
	v_add3_u32 v28, 0, v6, v26
	v_lshrrev_b32_e32 v1, 16, v1
	v_lshlrev_b32_e32 v6, 2, v62
	ds_write2_b32 v28, v7, v40 offset1:22
	ds_write_b32 v28, v25 offset:176
	v_add3_u32 v1, 0, v1, v6
	v_mul_u32_u24_e32 v6, 0x108, v63
	v_lshlrev_b32_e32 v7, 2, v64
	v_add_f32_e32 v27, v27, v53
	ds_write2_b32 v1, v9, v19 offset1:22
	ds_write_b32 v1, v23 offset:176
	v_add3_u32 v9, 0, v6, v7
	v_add_u32_e32 v26, 0x600, v42
	s_movk_i32 s2, 0x42
	v_add_f32_e32 v32, v32, v57
	v_add_f32_e32 v29, v29, v39
	ds_write2_b32 v9, v11, v31 offset1:22
	ds_write_b32 v9, v22 offset:176
	s_waitcnt lgkmcnt(0)
	s_barrier
	ds_read2_b32 v[6:7], v42 offset1:110
	ds_read2_b32 v[22:23], v21 offset0:20 offset1:130
	ds_read2_b32 v[40:41], v24 offset0:112 offset1:222
	;; [unrolled: 1-line block ×5, first 2 shown]
	ds_read_b32 v25, v48
	ds_read_b32 v35, v46
	ds_read_b32 v43, v42 offset:6160
	s_waitcnt lgkmcnt(0)
	s_barrier
	ds_write2_b32 v13, v27, v18 offset1:22
	ds_write_b32 v13, v30 offset:176
	ds_write2_b32 v0, v32, v8 offset1:22
	ds_write_b32 v0, v33 offset:176
	;; [unrolled: 2-line block ×5, first 2 shown]
	v_add_u32_e32 v0, 0xffffffbe, v102
	v_cmp_gt_u32_e32 vcc, s2, v102
	v_mov_b32_e32 v1, 0
	s_movk_i32 s2, 0xf9
	v_cndmask_b32_e32 v0, v0, v102, vcc
	v_lshlrev_b32_e32 v0, 2, v0
	v_lshl_add_u64 v[8:9], v[0:1], 3, s[8:9]
	s_waitcnt lgkmcnt(0)
	s_barrier
	global_load_dwordx4 v[10:13], v[8:9], off offset:440
	global_load_dwordx4 v[16:19], v[8:9], off offset:456
	v_mul_lo_u16_sdwa v8, v34, s2 dst_sel:DWORD dst_unused:UNUSED_PAD src0_sel:BYTE_0 src1_sel:DWORD
	v_lshrrev_b16_e32 v27, 14, v8
	v_mul_lo_u16_e32 v8, 0x42, v27
	v_sub_u16_e32 v47, v34, v8
	v_mov_b32_e32 v8, 5
	v_lshlrev_b32_sdwa v8, v8, v47 dst_sel:DWORD dst_unused:UNUSED_PAD src0_sel:DWORD src1_sel:BYTE_0
	s_mov_b32 s2, 0xf83f
	global_load_dwordx4 v[28:31], v8, s[8:9] offset:440
	global_load_dwordx4 v[36:39], v8, s[8:9] offset:456
	v_mul_u32_u24_sdwa v8, v70, s2 dst_sel:DWORD dst_unused:UNUSED_PAD src0_sel:WORD_0 src1_sel:DWORD
	v_lshrrev_b32_e32 v49, 22, v8
	v_mul_lo_u16_e32 v8, 0x42, v49
	v_sub_u16_e32 v71, v70, v8
	v_lshlrev_b32_e32 v8, 5, v71
	global_load_dwordx4 v[50:53], v8, s[8:9] offset:440
	global_load_dwordx4 v[54:57], v8, s[8:9] offset:456
	ds_read2_b32 v[8:9], v42 offset1:110
	ds_read2_b32 v[32:33], v21 offset0:20 offset1:130
	ds_read2_b32 v[62:63], v24 offset0:112 offset1:222
	;; [unrolled: 1-line block ×3, first 2 shown]
	ds_read_b32 v72, v48
	ds_read2_b32 v[66:67], v26 offset0:56 offset1:166
	ds_read2_b32 v[68:69], v14 offset0:76 offset1:186
	ds_read_b32 v73, v46
	ds_read_b32 v74, v42 offset:6160
	v_lshlrev_b32_sdwa v15, v15, v47 dst_sel:DWORD dst_unused:UNUSED_PAD src0_sel:DWORD src1_sel:BYTE_0
	s_movk_i32 s3, 0x41
	v_cmp_lt_u32_e32 vcc, s3, v102
	s_waitcnt lgkmcnt(0)
	s_barrier
	s_mov_b32 s2, 0x3f737871
	s_waitcnt vmcnt(5)
	v_mul_f32_e32 v75, v72, v11
	v_mul_f32_e32 v11, v25, v11
	v_fma_f32 v75, v25, v10, -v75
	v_fmac_f32_e32 v11, v72, v10
	v_mul_f32_e32 v10, v32, v13
	v_mul_f32_e32 v13, v22, v13
	v_fma_f32 v10, v22, v12, -v10
	v_fmac_f32_e32 v13, v32, v12
	s_waitcnt vmcnt(4)
	v_mul_f32_e32 v12, v63, v17
	v_mul_f32_e32 v17, v41, v17
	s_waitcnt vmcnt(3)
	v_mul_f32_e32 v25, v33, v31
	v_fma_f32 v12, v41, v16, -v12
	v_fmac_f32_e32 v17, v63, v16
	v_mul_f32_e32 v16, v64, v19
	v_mul_f32_e32 v19, v44, v19
	v_fma_f32 v25, v23, v30, -v25
	v_mul_f32_e32 v23, v23, v31
	v_fma_f32 v16, v44, v18, -v16
	v_fmac_f32_e32 v19, v64, v18
	v_mul_f32_e32 v18, v66, v29
	v_mul_f32_e32 v22, v58, v29
	v_fmac_f32_e32 v23, v33, v30
	s_waitcnt vmcnt(2)
	v_mul_f32_e32 v30, v65, v39
	v_fma_f32 v18, v58, v28, -v18
	v_fmac_f32_e32 v22, v66, v28
	v_mul_f32_e32 v28, v68, v37
	v_mul_f32_e32 v29, v60, v37
	v_fma_f32 v30, v45, v38, -v30
	v_mul_f32_e32 v31, v45, v39
	v_add_f32_e32 v45, v10, v12
	v_fma_f32 v28, v60, v36, -v28
	v_fmac_f32_e32 v29, v68, v36
	v_fmac_f32_e32 v31, v65, v38
	s_waitcnt vmcnt(1)
	v_mul_f32_e32 v33, v67, v51
	v_mul_f32_e32 v36, v59, v51
	;; [unrolled: 1-line block ×4, first 2 shown]
	v_fma_f32 v45, -0.5, v45, v6
	v_sub_f32_e32 v47, v11, v19
	v_fma_f32 v33, v59, v50, -v33
	v_fmac_f32_e32 v36, v67, v50
	v_fma_f32 v37, v40, v52, -v37
	v_fmac_f32_e32 v38, v62, v52
	v_fmamk_f32 v50, v47, 0x3f737871, v45
	v_sub_f32_e32 v51, v13, v17
	v_sub_f32_e32 v52, v75, v10
	;; [unrolled: 1-line block ×3, first 2 shown]
	v_fmac_f32_e32 v45, 0xbf737871, v47
	v_fmac_f32_e32 v50, 0x3f167918, v51
	v_add_f32_e32 v52, v52, v53
	v_fmac_f32_e32 v45, 0xbf167918, v51
	v_add_f32_e32 v44, v6, v75
	v_fmac_f32_e32 v50, 0x3e9e377a, v52
	v_fmac_f32_e32 v45, 0x3e9e377a, v52
	v_add_f32_e32 v52, v75, v16
	s_waitcnt vmcnt(0)
	v_mul_f32_e32 v39, v69, v55
	v_mul_f32_e32 v40, v61, v55
	v_add_f32_e32 v44, v44, v10
	v_fma_f32 v6, -0.5, v52, v6
	v_fma_f32 v39, v61, v54, -v39
	v_fmac_f32_e32 v40, v69, v54
	v_add_f32_e32 v44, v44, v12
	v_fmamk_f32 v52, v51, 0xbf737871, v6
	v_sub_f32_e32 v53, v10, v75
	v_sub_f32_e32 v54, v12, v16
	v_fmac_f32_e32 v6, 0x3f737871, v51
	v_add_f32_e32 v51, v13, v17
	v_add_f32_e32 v44, v44, v16
	v_fmac_f32_e32 v52, 0x3f167918, v47
	v_add_f32_e32 v53, v53, v54
	v_fmac_f32_e32 v6, 0xbf167918, v47
	v_fma_f32 v51, -0.5, v51, v8
	v_sub_f32_e32 v16, v75, v16
	v_fmac_f32_e32 v52, 0x3e9e377a, v53
	v_fmac_f32_e32 v6, 0x3e9e377a, v53
	v_fmamk_f32 v53, v16, 0xbf737871, v51
	v_sub_f32_e32 v10, v10, v12
	v_sub_f32_e32 v12, v11, v13
	;; [unrolled: 1-line block ×3, first 2 shown]
	v_fmac_f32_e32 v51, 0x3f737871, v16
	v_fmac_f32_e32 v53, 0xbf167918, v10
	v_add_f32_e32 v12, v12, v54
	v_fmac_f32_e32 v51, 0x3f167918, v10
	v_fmac_f32_e32 v53, 0x3e9e377a, v12
	;; [unrolled: 1-line block ×3, first 2 shown]
	v_add_f32_e32 v12, v11, v19
	v_fma_f32 v54, -0.5, v12, v8
	v_add_f32_e32 v47, v8, v11
	v_fmamk_f32 v55, v10, 0x3f737871, v54
	v_sub_f32_e32 v8, v13, v11
	v_sub_f32_e32 v11, v17, v19
	v_fmac_f32_e32 v54, 0xbf737871, v10
	v_add_f32_e32 v10, v25, v28
	v_add_f32_e32 v47, v47, v13
	;; [unrolled: 1-line block ×3, first 2 shown]
	v_fma_f32 v10, -0.5, v10, v7
	v_sub_f32_e32 v11, v22, v31
	v_add_f32_e32 v47, v47, v17
	v_fmac_f32_e32 v55, 0xbf167918, v16
	v_fmac_f32_e32 v54, 0x3f167918, v16
	v_fmamk_f32 v12, v11, 0x3f737871, v10
	v_sub_f32_e32 v13, v23, v29
	v_sub_f32_e32 v16, v18, v25
	;; [unrolled: 1-line block ×3, first 2 shown]
	v_fmac_f32_e32 v10, 0xbf737871, v11
	v_fmac_f32_e32 v12, 0x3f167918, v13
	v_add_f32_e32 v16, v16, v17
	v_fmac_f32_e32 v10, 0xbf167918, v13
	v_fmac_f32_e32 v12, 0x3e9e377a, v16
	;; [unrolled: 1-line block ×3, first 2 shown]
	v_add_f32_e32 v16, v18, v30
	v_fmac_f32_e32 v55, 0x3e9e377a, v8
	v_fmac_f32_e32 v54, 0x3e9e377a, v8
	v_add_f32_e32 v8, v7, v18
	v_fmac_f32_e32 v7, -0.5, v16
	v_fmamk_f32 v16, v13, 0xbf737871, v7
	v_fmac_f32_e32 v7, 0x3f737871, v13
	v_fmac_f32_e32 v16, 0x3f167918, v11
	;; [unrolled: 1-line block ×3, first 2 shown]
	v_add_f32_e32 v11, v9, v22
	v_mul_f32_e32 v41, v74, v57
	v_add_f32_e32 v11, v11, v23
	v_fma_f32 v41, v43, v56, -v41
	v_mul_f32_e32 v43, v43, v57
	v_add_f32_e32 v11, v11, v29
	v_fmac_f32_e32 v43, v74, v56
	v_add_f32_e32 v47, v47, v19
	v_add_f32_e32 v8, v8, v25
	v_sub_f32_e32 v17, v25, v18
	v_sub_f32_e32 v19, v28, v30
	v_add_f32_e32 v56, v11, v31
	v_add_f32_e32 v11, v23, v29
	;; [unrolled: 1-line block ×4, first 2 shown]
	v_fma_f32 v57, -0.5, v11, v9
	v_sub_f32_e32 v11, v18, v30
	v_add_f32_e32 v8, v8, v30
	v_fmac_f32_e32 v16, 0x3e9e377a, v17
	v_fmac_f32_e32 v7, 0x3e9e377a, v17
	v_fmamk_f32 v30, v11, 0xbf737871, v57
	v_sub_f32_e32 v13, v25, v28
	v_sub_f32_e32 v17, v22, v23
	;; [unrolled: 1-line block ×3, first 2 shown]
	v_fmac_f32_e32 v57, 0x3f737871, v11
	v_fmac_f32_e32 v30, 0xbf167918, v13
	v_add_f32_e32 v17, v17, v18
	v_fmac_f32_e32 v57, 0x3f167918, v13
	v_fmac_f32_e32 v30, 0x3e9e377a, v17
	;; [unrolled: 1-line block ×3, first 2 shown]
	v_add_f32_e32 v17, v22, v31
	v_fmac_f32_e32 v9, -0.5, v17
	v_fmamk_f32 v25, v13, 0x3f737871, v9
	v_sub_f32_e32 v17, v23, v22
	v_sub_f32_e32 v18, v29, v31
	v_fmac_f32_e32 v9, 0xbf737871, v13
	v_fmac_f32_e32 v25, 0xbf167918, v11
	v_add_f32_e32 v17, v17, v18
	v_fmac_f32_e32 v9, 0x3f167918, v11
	v_add_f32_e32 v13, v37, v39
	v_fmac_f32_e32 v25, 0x3e9e377a, v17
	v_fmac_f32_e32 v9, 0x3e9e377a, v17
	v_fma_f32 v13, -0.5, v13, v35
	v_sub_f32_e32 v17, v36, v43
	v_fmamk_f32 v18, v17, 0x3f737871, v13
	v_sub_f32_e32 v19, v38, v40
	v_sub_f32_e32 v22, v33, v37
	v_sub_f32_e32 v23, v41, v39
	v_fmac_f32_e32 v13, 0xbf737871, v17
	v_fmac_f32_e32 v18, 0x3f167918, v19
	v_add_f32_e32 v22, v22, v23
	v_fmac_f32_e32 v13, 0xbf167918, v19
	v_fmac_f32_e32 v18, 0x3e9e377a, v22
	;; [unrolled: 1-line block ×3, first 2 shown]
	v_add_f32_e32 v22, v33, v41
	v_add_f32_e32 v11, v35, v33
	v_fmac_f32_e32 v35, -0.5, v22
	v_fmamk_f32 v22, v19, 0xbf737871, v35
	v_fmac_f32_e32 v35, 0x3f737871, v19
	v_fmac_f32_e32 v22, 0x3f167918, v17
	;; [unrolled: 1-line block ×3, first 2 shown]
	v_add_f32_e32 v17, v73, v36
	v_add_f32_e32 v17, v17, v38
	v_sub_f32_e32 v23, v37, v33
	v_sub_f32_e32 v28, v39, v41
	v_add_f32_e32 v17, v17, v40
	v_add_f32_e32 v23, v23, v28
	;; [unrolled: 1-line block ×4, first 2 shown]
	v_fma_f32 v29, -0.5, v17, v73
	v_sub_f32_e32 v17, v33, v41
	v_fmac_f32_e32 v22, 0x3e9e377a, v23
	v_fmac_f32_e32 v35, 0x3e9e377a, v23
	v_fmamk_f32 v31, v17, 0xbf737871, v29
	v_sub_f32_e32 v19, v37, v39
	v_sub_f32_e32 v23, v36, v38
	;; [unrolled: 1-line block ×3, first 2 shown]
	v_fmac_f32_e32 v29, 0x3f737871, v17
	v_fmac_f32_e32 v31, 0xbf167918, v19
	v_add_f32_e32 v23, v23, v33
	v_fmac_f32_e32 v29, 0x3f167918, v19
	v_fmac_f32_e32 v31, 0x3e9e377a, v23
	;; [unrolled: 1-line block ×3, first 2 shown]
	v_add_f32_e32 v23, v36, v43
	v_fmac_f32_e32 v73, -0.5, v23
	v_fmamk_f32 v33, v19, 0x3f737871, v73
	v_fmac_f32_e32 v73, 0xbf737871, v19
	v_fmac_f32_e32 v33, 0xbf167918, v17
	v_fmac_f32_e32 v73, 0x3f167918, v17
	v_mov_b32_e32 v17, 0x528
	v_cndmask_b32_e32 v17, 0, v17, vcc
	v_add3_u32 v0, 0, v17, v0
	v_add_f32_e32 v11, v11, v37
	ds_write2_b32 v0, v44, v50 offset1:66
	ds_write2_b32 v0, v52, v6 offset0:132 offset1:198
	ds_write_b32 v0, v45 offset:1056
	v_mul_u32_u24_e32 v6, 0x528, v27
	v_lshlrev_b32_e32 v32, 2, v71
	v_add_f32_e32 v11, v11, v39
	v_sub_f32_e32 v23, v38, v36
	v_sub_f32_e32 v36, v40, v43
	v_add3_u32 v27, 0, v6, v15
	v_mul_u32_u24_e32 v6, 0x528, v49
	v_add_f32_e32 v11, v11, v41
	v_add_f32_e32 v23, v23, v36
	ds_write2_b32 v27, v8, v12 offset1:66
	ds_write2_b32 v27, v16, v7 offset0:132 offset1:198
	ds_write_b32 v27, v10 offset:1056
	v_add3_u32 v7, 0, v6, v32
	v_fmac_f32_e32 v33, 0x3e9e377a, v23
	v_fmac_f32_e32 v73, 0x3e9e377a, v23
	ds_write2_b32 v7, v11, v18 offset1:66
	ds_write2_b32 v7, v22, v35 offset0:132 offset1:198
	ds_write_b32 v7, v13 offset:1056
	s_waitcnt lgkmcnt(0)
	s_barrier
	ds_read2_b32 v[16:17], v42 offset1:110
	ds_read2_b32 v[22:23], v21 offset0:20 offset1:130
	ds_read2_b32 v[12:13], v24 offset0:112 offset1:222
	;; [unrolled: 1-line block ×5, first 2 shown]
	ds_read_b32 v36, v48
	ds_read_b32 v6, v46
	ds_read_b32 v8, v42 offset:6160
	s_waitcnt lgkmcnt(0)
	s_barrier
	ds_write2_b32 v0, v47, v53 offset1:66
	ds_write2_b32 v0, v55, v54 offset0:132 offset1:198
	ds_write_b32 v0, v51 offset:1056
	ds_write2_b32 v27, v56, v30 offset1:66
	ds_write2_b32 v27, v25, v9 offset0:132 offset1:198
	ds_write_b32 v27, v57 offset:1056
	;; [unrolled: 3-line block ×3, first 2 shown]
	s_waitcnt lgkmcnt(0)
	s_barrier
	s_and_saveexec_b64 s[14:15], s[0:1]
	s_cbranch_execz .LBB0_29
; %bb.28:
	v_lshlrev_b32_e32 v0, 2, v70
	v_lshl_add_u64 v[24:25], v[0:1], 3, s[8:9]
	v_lshlrev_b32_e32 v0, 2, v34
	v_lshl_add_u64 v[54:55], v[0:1], 3, s[8:9]
	;; [unrolled: 2-line block ×3, first 2 shown]
	global_load_dwordx4 v[38:41], v[20:21], off offset:2552
	global_load_dwordx4 v[50:53], v[20:21], off offset:2568
	v_mul_lo_u32 v0, s11, v4
	v_mul_lo_u32 v5, s10, v5
	v_mad_u64_u32 v[44:45], s[0:1], s10, v4, 0
	v_add3_u32 v45, v45, v5, v0
	ds_read2_b32 v[20:21], v26 offset0:56 offset1:166
	v_add_u32_e32 v9, 0xc00, v42
	v_add_u32_e32 v28, 0x1000, v42
	;; [unrolled: 1-line block ×4, first 2 shown]
	ds_read2_b32 v[26:27], v42 offset1:110
	ds_read_b32 v4, v42 offset:6160
	ds_read_b32 v7, v46
	ds_read_b32 v56, v48
	v_lshl_add_u64 v[42:43], v[44:45], 3, s[6:7]
	ds_read2_b32 v[30:31], v9 offset0:112 offset1:222
	ds_read2_b32 v[28:29], v28 offset0:76 offset1:186
	;; [unrolled: 1-line block ×4, first 2 shown]
	v_lshl_add_u64 v[2:3], v[2:3], 3, v[42:43]
	global_load_dwordx4 v[42:45], v[54:55], off offset:2568
	global_load_dwordx4 v[46:49], v[54:55], off offset:2552
	s_mov_b32 s0, 0x634c0635
	v_mul_hi_u32 v0, v102, s0
	v_lshrrev_b32_e32 v0, 7, v0
	v_mul_u32_u24_e32 v0, 0x14a, v0
	v_sub_u32_e32 v0, v102, v0
	v_lshlrev_b32_e32 v0, 3, v0
	v_lshl_add_u64 v[54:55], v[2:3], 0, v[0:1]
	s_waitcnt lgkmcnt(3)
	v_mov_b32_e32 v0, v31
	v_mov_b32_e32 v58, v13
	;; [unrolled: 1-line block ×5, first 2 shown]
	s_movk_i32 s1, 0x1000
	s_waitcnt lgkmcnt(1)
	v_mov_b32_e32 v16, v35
	v_mov_b32_e32 v26, v17
	s_waitcnt vmcnt(3)
	v_mov_b32_e32 v64, v41
	v_mov_b32_e32 v65, v40
	v_pk_mul_f32 v[56:57], v[56:57], v[38:39] op_sel:[0,1] op_sel_hi:[0,0]
	s_waitcnt vmcnt(2)
	v_pk_mul_f32 v[66:67], v[0:1], v[50:51] op_sel:[0,1] op_sel_hi:[0,0]
	v_mov_b32_e32 v68, v53
	v_mov_b32_e32 v69, v52
	v_pk_mul_f32 v[64:65], v[34:35], v[64:65] op_sel_hi:[0,1]
	v_pk_fma_f32 v[70:71], v[36:37], v[38:39], v[56:57] neg_lo:[0,0,1] neg_hi:[0,0,1]
	v_pk_fma_f32 v[36:37], v[36:37], v[38:39], v[56:57] op_sel_hi:[0,1,1]
	v_pk_fma_f32 v[38:39], v[58:59], v[50:51], v[66:67] neg_lo:[0,0,1] neg_hi:[0,0,1]
	v_pk_fma_f32 v[50:51], v[60:61], v[50:51], v[66:67] op_sel_hi:[0,1,1]
	s_waitcnt lgkmcnt(0)
	v_pk_mul_f32 v[56:57], v[32:33], v[68:69] op_sel_hi:[0,1]
	v_pk_fma_f32 v[58:59], v[22:23], v[40:41], v[64:65] neg_lo:[0,0,1] neg_hi:[0,0,1]
	v_pk_fma_f32 v[40:41], v[22:23], v[40:41], v[64:65] op_sel_hi:[0,1,1]
	v_mov_b32_e32 v71, v37
	v_mov_b32_e32 v39, v51
	v_pk_fma_f32 v[36:37], v[18:19], v[52:53], v[56:57] neg_lo:[0,0,1] neg_hi:[0,0,1]
	v_pk_fma_f32 v[50:51], v[18:19], v[52:53], v[56:57] op_sel_hi:[0,1,1]
	v_mov_b32_e32 v59, v41
	v_mov_b32_e32 v37, v51
	v_pk_add_f32 v[40:41], v[62:63], v[70:71]
	v_pk_add_f32 v[50:51], v[58:59], v[38:39]
	;; [unrolled: 1-line block ×3, first 2 shown]
	v_pk_add_f32 v[52:53], v[70:71], v[36:37] neg_lo:[0,1] neg_hi:[0,1]
	v_pk_add_f32 v[56:57], v[58:59], v[38:39] neg_lo:[0,1] neg_hi:[0,1]
	;; [unrolled: 1-line block ×4, first 2 shown]
	v_pk_add_f32 v[68:69], v[70:71], v[36:37]
	v_pk_add_f32 v[38:39], v[40:41], v[38:39]
	v_pk_fma_f32 v[40:41], v[50:51], 0.5, v[62:63] op_sel_hi:[1,0,1] neg_lo:[1,0,0] neg_hi:[1,0,0]
	v_pk_mul_f32 v[50:51], v[52:53], s[2:3] op_sel_hi:[1,0]
	v_pk_add_f32 v[60:61], v[70:71], v[58:59] neg_lo:[0,1] neg_hi:[0,1]
	v_pk_add_f32 v[58:59], v[58:59], v[70:71] neg_lo:[0,1] neg_hi:[0,1]
	v_pk_mul_f32 v[70:71], v[56:57], s[4:5] op_sel_hi:[1,0]
	v_pk_fma_f32 v[62:63], v[68:69], 0.5, v[62:63] op_sel_hi:[1,0,1] neg_lo:[1,0,0] neg_hi:[1,0,0]
	v_pk_mul_f32 v[56:57], v[56:57], s[2:3] op_sel_hi:[1,0]
	v_pk_add_f32 v[36:37], v[36:37], v[38:39]
	v_pk_add_f32 v[38:39], v[40:41], v[50:51] op_sel:[0,1] op_sel_hi:[1,0]
	v_pk_add_f32 v[40:41], v[40:41], v[50:51] op_sel:[0,1] op_sel_hi:[1,0] neg_lo:[0,1] neg_hi:[0,1]
	v_pk_mul_f32 v[52:53], v[52:53], s[4:5] op_sel_hi:[1,0]
	v_pk_add_f32 v[50:51], v[62:63], v[56:57] op_sel:[0,1] op_sel_hi:[1,0] neg_lo:[0,1] neg_hi:[0,1]
	v_pk_add_f32 v[56:57], v[62:63], v[56:57] op_sel:[0,1] op_sel_hi:[1,0]
	global_store_dwordx2 v[54:55], v[36:37], off
	v_pk_add_f32 v[36:37], v[40:41], v[70:71] op_sel:[0,1] op_sel_hi:[1,0] neg_lo:[0,1] neg_hi:[0,1]
	v_pk_add_f32 v[38:39], v[38:39], v[70:71] op_sel:[0,1] op_sel_hi:[1,0]
	v_pk_add_f32 v[60:61], v[60:61], v[64:65]
	v_pk_add_f32 v[40:41], v[56:57], v[52:53] op_sel:[0,1] op_sel_hi:[1,0] neg_lo:[0,1] neg_hi:[0,1]
	v_mov_b32_e32 v56, v38
	v_mov_b32_e32 v57, v37
	v_add_u32_e32 v0, 0x6e, v102
	v_pk_fma_f32 v[56:57], v[60:61], s[12:13], v[56:57] op_sel_hi:[1,0,1]
	v_mul_hi_u32 v5, v0, s0
	global_store_dwordx2 v[54:55], v[56:57], off offset:2640
	v_add_co_u32_e32 v56, vcc, s1, v54
	v_lshrrev_b32_e32 v5, 7, v5
	s_nop 0
	v_addc_co_u32_e32 v57, vcc, 0, v55, vcc
	s_movk_i32 s1, 0x2000
	v_mul_u32_u24_e32 v9, 0x14a, v5
	v_mov_b32_e32 v37, v39
	v_add_co_u32_e32 v38, vcc, s1, v54
	v_sub_u32_e32 v0, v0, v9
	s_movk_i32 s1, 0x672
	v_pk_add_f32 v[50:51], v[50:51], v[52:53] op_sel:[0,1] op_sel_hi:[1,0]
	v_pk_fma_f32 v[36:37], v[60:61], s[12:13], v[36:37] op_sel_hi:[1,0,1]
	v_addc_co_u32_e32 v39, vcc, 0, v55, vcc
	v_mad_u32_u24 v0, v5, s1, v0
	v_pk_add_f32 v[58:59], v[58:59], v[66:67]
	v_mov_b32_e32 v52, v50
	v_mov_b32_e32 v53, v41
	;; [unrolled: 1-line block ×3, first 2 shown]
	global_store_dwordx2 v[38:39], v[36:37], off offset:2368
	v_add_u32_e32 v36, 0x14a, v0
	v_mov_b32_e32 v37, v1
	v_pk_fma_f32 v[52:53], v[58:59], s[12:13], v[52:53] op_sel_hi:[1,0,1]
	v_pk_fma_f32 v[40:41], v[58:59], s[12:13], v[40:41] op_sel_hi:[1,0,1]
	v_lshl_add_u64 v[54:55], v[36:37], 3, v[2:3]
	v_add_u32_e32 v36, 0x294, v0
	global_store_dwordx2 v[56:57], v[52:53], off offset:1184
	global_store_dwordx2 v[56:57], v[40:41], off offset:3824
	v_lshl_add_u64 v[56:57], v[36:37], 3, v[2:3]
	v_add_u32_e32 v36, 0x3de, v0
	v_lshl_add_u64 v[58:59], v[36:37], 3, v[2:3]
	s_waitcnt vmcnt(5)
	v_pk_mul_f32 v[36:37], v[20:21], v[46:47] op_sel:[0,1] op_sel_hi:[0,0]
	v_pk_fma_f32 v[62:63], v[10:11], v[46:47], v[36:37] neg_lo:[0,0,1] neg_hi:[0,0,1]
	v_pk_fma_f32 v[36:37], v[10:11], v[46:47], v[36:37] op_sel_hi:[0,1,1]
	v_mov_b32_e32 v63, v37
	global_load_dwordx4 v[36:39], v[24:25], off offset:2568
	global_load_dwordx4 v[50:53], v[24:25], off offset:2552
	v_lshl_add_u64 v[40:41], v[0:1], 3, v[2:3]
	v_add_u32_e32 v0, 0x528, v0
	v_lshl_add_u64 v[60:61], v[0:1], 3, v[2:3]
	v_mov_b32_e32 v0, v23
	v_mov_b32_e32 v10, v23
	;; [unrolled: 1-line block ×4, first 2 shown]
	v_pk_mul_f32 v[22:23], v[16:17], v[22:23] op_sel_hi:[0,1]
	v_pk_fma_f32 v[24:25], v[0:1], v[48:49], v[22:23] neg_lo:[0,0,1] neg_hi:[0,0,1]
	v_pk_fma_f32 v[22:23], v[10:11], v[48:49], v[22:23] op_sel_hi:[0,1,1]
	v_mov_b32_e32 v0, v19
	v_mov_b32_e32 v10, v19
	;; [unrolled: 1-line block ×5, first 2 shown]
	v_pk_mul_f32 v[18:19], v[16:17], v[18:19] op_sel_hi:[0,1]
	v_mov_b32_e32 v25, v23
	v_pk_fma_f32 v[22:23], v[0:1], v[44:45], v[18:19] neg_lo:[0,0,1] neg_hi:[0,0,1]
	v_pk_fma_f32 v[18:19], v[10:11], v[44:45], v[18:19] op_sel_hi:[0,1,1]
	v_mov_b32_e32 v23, v19
	v_pk_mul_f32 v[18:19], v[28:29], v[42:43] op_sel:[0,1] op_sel_hi:[0,0]
	v_pk_fma_f32 v[32:33], v[14:15], v[42:43], v[18:19] neg_lo:[0,0,1] neg_hi:[0,0,1]
	v_pk_fma_f32 v[18:19], v[14:15], v[42:43], v[18:19] op_sel_hi:[0,1,1]
	v_mov_b32_e32 v33, v19
	v_pk_add_f32 v[42:43], v[24:25], v[32:33]
	v_pk_add_f32 v[18:19], v[62:63], v[22:23] neg_lo:[0,1] neg_hi:[0,1]
	v_pk_fma_f32 v[16:17], v[42:43], 0.5, v[26:27] op_sel_hi:[1,0,1] neg_lo:[1,0,0] neg_hi:[1,0,0]
	v_pk_add_f32 v[42:43], v[62:63], v[24:25] neg_lo:[0,1] neg_hi:[0,1]
	v_pk_add_f32 v[44:45], v[22:23], v[32:33] neg_lo:[0,1] neg_hi:[0,1]
	;; [unrolled: 1-line block ×3, first 2 shown]
	v_pk_add_f32 v[42:43], v[42:43], v[44:45]
	v_pk_fma_f32 v[44:45], v[18:19], s[2:3], v[16:17] op_sel:[1,0,0] op_sel_hi:[0,0,1] neg_lo:[1,0,0] neg_hi:[1,0,0]
	v_pk_fma_f32 v[16:17], v[18:19], s[2:3], v[16:17] op_sel:[1,0,0] op_sel_hi:[0,0,1]
	v_pk_fma_f32 v[16:17], v[34:35], s[4:5], v[16:17] op_sel:[1,0,0] op_sel_hi:[0,0,1]
	v_pk_fma_f32 v[44:45], v[34:35], s[4:5], v[44:45] op_sel:[1,0,0] op_sel_hi:[0,0,1] neg_lo:[1,0,0] neg_hi:[1,0,0]
	v_pk_add_f32 v[48:49], v[26:27], v[62:63]
	v_mov_b32_e32 v47, v17
	v_pk_add_f32 v[48:49], v[24:25], v[48:49]
	v_mov_b32_e32 v17, v45
	v_pk_add_f32 v[48:49], v[48:49], v[32:33]
	v_pk_fma_f32 v[16:17], v[42:43], s[12:13], v[16:17] op_sel_hi:[1,0,1]
	v_pk_add_f32 v[48:49], v[48:49], v[22:23]
	global_store_dwordx2 v[54:55], v[16:17], off
	v_pk_add_f32 v[16:17], v[24:25], v[62:63] neg_lo:[0,1] neg_hi:[0,1]
	v_pk_add_f32 v[24:25], v[32:33], v[22:23] neg_lo:[0,1] neg_hi:[0,1]
	v_pk_add_f32 v[22:23], v[62:63], v[22:23]
	v_add_u32_e32 v0, 0xdc, v102
	v_pk_fma_f32 v[22:23], v[22:23], 0.5, v[26:27] op_sel_hi:[1,0,1] neg_lo:[1,0,0] neg_hi:[1,0,0]
	v_mul_hi_u32 v5, v0, s0
	v_pk_add_f32 v[16:17], v[16:17], v[24:25]
	v_pk_fma_f32 v[24:25], v[34:35], s[2:3], v[22:23] op_sel:[1,0,0] op_sel_hi:[0,0,1]
	v_pk_fma_f32 v[22:23], v[34:35], s[2:3], v[22:23] op_sel:[1,0,0] op_sel_hi:[0,0,1] neg_lo:[1,0,0] neg_hi:[1,0,0]
	v_lshrrev_b32_e32 v5, 7, v5
	v_pk_fma_f32 v[22:23], v[18:19], s[4:5], v[22:23] op_sel:[1,0,0] op_sel_hi:[0,0,1]
	v_pk_fma_f32 v[18:19], v[18:19], s[4:5], v[24:25] op_sel:[1,0,0] op_sel_hi:[0,0,1] neg_lo:[1,0,0] neg_hi:[1,0,0]
	v_mul_u32_u24_e32 v9, 0x14a, v5
	v_mov_b32_e32 v24, v18
	v_mov_b32_e32 v25, v23
	;; [unrolled: 1-line block ×3, first 2 shown]
	v_sub_u32_e32 v0, v0, v9
	v_mov_b32_e32 v46, v44
	v_pk_fma_f32 v[24:25], v[16:17], s[12:13], v[24:25] op_sel_hi:[1,0,1]
	v_pk_fma_f32 v[16:17], v[16:17], s[12:13], v[22:23] op_sel_hi:[1,0,1]
	v_mad_u32_u24 v0, v5, s1, v0
	v_pk_fma_f32 v[46:47], v[42:43], s[12:13], v[46:47] op_sel_hi:[1,0,1]
	global_store_dwordx2 v[40:41], v[48:49], off
	global_store_dwordx2 v[56:57], v[16:17], off
	;; [unrolled: 1-line block ×4, first 2 shown]
	v_lshl_add_u64 v[16:17], v[0:1], 3, v[2:3]
	v_add_u32_e32 v18, 0x14a, v0
	v_mov_b32_e32 v19, v1
	v_add_u32_e32 v22, 0x294, v0
	v_mov_b32_e32 v23, v1
	;; [unrolled: 2-line block ×3, first 2 shown]
	v_add_u32_e32 v0, 0x528, v0
	v_lshl_add_u64 v[18:19], v[18:19], 3, v[2:3]
	v_lshl_add_u64 v[22:23], v[22:23], 3, v[2:3]
	v_lshl_add_u64 v[24:25], v[24:25], 3, v[2:3]
	v_lshl_add_u64 v[0:1], v[0:1], 3, v[2:3]
	s_waitcnt vmcnt(5)
	v_mov_b32_e32 v2, v53
	v_mov_b32_e32 v3, v52
	v_pk_mul_f32 v[2:3], v[30:31], v[2:3] op_sel_hi:[0,1]
	v_pk_fma_f32 v[26:27], v[12:13], v[52:53], v[2:3] neg_lo:[0,0,1] neg_hi:[0,0,1]
	v_pk_fma_f32 v[2:3], v[12:13], v[52:53], v[2:3] op_sel_hi:[0,1,1]
	v_mov_b32_e32 v12, v29
	v_mov_b32_e32 v2, v15
	;; [unrolled: 1-line block ×3, first 2 shown]
	v_pk_mul_f32 v[12:13], v[12:13], v[36:37] op_sel:[0,1] op_sel_hi:[0,0]
	v_mov_b32_e32 v27, v3
	v_pk_fma_f32 v[2:3], v[2:3], v[36:37], v[12:13] neg_lo:[0,0,1] neg_hi:[0,0,1]
	v_pk_fma_f32 v[12:13], v[10:11], v[36:37], v[12:13] op_sel_hi:[0,1,1]
	v_mov_b32_e32 v14, v21
	v_mov_b32_e32 v10, v11
	;; [unrolled: 1-line block ×3, first 2 shown]
	v_pk_mul_f32 v[14:15], v[14:15], v[50:51] op_sel:[0,1] op_sel_hi:[0,0]
	v_mov_b32_e32 v3, v13
	v_pk_fma_f32 v[10:11], v[10:11], v[50:51], v[14:15] neg_lo:[0,0,1] neg_hi:[0,0,1]
	v_pk_fma_f32 v[12:13], v[12:13], v[50:51], v[14:15] op_sel_hi:[0,1,1]
	v_mov_b32_e32 v11, v13
	v_mov_b32_e32 v12, v39
	;; [unrolled: 1-line block ×3, first 2 shown]
	v_pk_mul_f32 v[4:5], v[4:5], v[12:13] op_sel_hi:[0,1]
	v_pk_fma_f32 v[12:13], v[8:9], v[38:39], v[4:5] neg_lo:[0,0,1] neg_hi:[0,0,1]
	v_pk_fma_f32 v[4:5], v[8:9], v[38:39], v[4:5] op_sel_hi:[0,1,1]
	v_mov_b32_e32 v13, v5
	v_pk_add_f32 v[4:5], v[10:11], v[26:27] neg_lo:[0,1] neg_hi:[0,1]
	v_pk_add_f32 v[8:9], v[12:13], v[2:3] neg_lo:[0,1] neg_hi:[0,1]
	;; [unrolled: 1-line block ×3, first 2 shown]
	v_pk_add_f32 v[4:5], v[4:5], v[8:9]
	v_pk_add_f32 v[8:9], v[26:27], v[2:3]
	v_pk_add_f32 v[28:29], v[26:27], v[2:3] neg_lo:[0,1] neg_hi:[0,1]
	v_pk_fma_f32 v[8:9], v[8:9], 0.5, v[6:7] op_sel_hi:[1,0,1] neg_lo:[1,0,0] neg_hi:[1,0,0]
	v_pk_add_f32 v[32:33], v[6:7], v[10:11]
	v_pk_fma_f32 v[20:21], v[14:15], s[2:3], v[8:9] op_sel:[1,0,0] op_sel_hi:[0,0,1] neg_lo:[1,0,0] neg_hi:[1,0,0]
	v_pk_fma_f32 v[8:9], v[14:15], s[2:3], v[8:9] op_sel:[1,0,0] op_sel_hi:[0,0,1]
	v_pk_fma_f32 v[8:9], v[28:29], s[4:5], v[8:9] op_sel:[1,0,0] op_sel_hi:[0,0,1]
	v_pk_fma_f32 v[20:21], v[28:29], s[4:5], v[20:21] op_sel:[1,0,0] op_sel_hi:[0,0,1] neg_lo:[1,0,0] neg_hi:[1,0,0]
	v_mov_b32_e32 v30, v20
	v_mov_b32_e32 v31, v9
	;; [unrolled: 1-line block ×3, first 2 shown]
	v_pk_fma_f32 v[30:31], v[4:5], s[12:13], v[30:31] op_sel_hi:[1,0,1]
	v_pk_add_f32 v[32:33], v[32:33], v[26:27]
	v_pk_fma_f32 v[4:5], v[4:5], s[12:13], v[8:9] op_sel_hi:[1,0,1]
	v_pk_add_f32 v[32:33], v[32:33], v[2:3]
	global_store_dwordx2 v[18:19], v[4:5], off
	v_pk_add_f32 v[4:5], v[26:27], v[10:11] neg_lo:[0,1] neg_hi:[0,1]
	v_pk_add_f32 v[2:3], v[2:3], v[12:13] neg_lo:[0,1] neg_hi:[0,1]
	v_pk_add_f32 v[32:33], v[12:13], v[32:33]
	v_pk_add_f32 v[2:3], v[4:5], v[2:3]
	;; [unrolled: 1-line block ×3, first 2 shown]
	global_store_dwordx2 v[16:17], v[32:33], off
	v_pk_fma_f32 v[4:5], v[4:5], 0.5, v[6:7] op_sel_hi:[1,0,1] neg_lo:[1,0,0] neg_hi:[1,0,0]
	s_nop 0
	v_pk_fma_f32 v[6:7], v[28:29], s[2:3], v[4:5] op_sel:[1,0,0] op_sel_hi:[0,0,1]
	v_pk_fma_f32 v[4:5], v[28:29], s[2:3], v[4:5] op_sel:[1,0,0] op_sel_hi:[0,0,1] neg_lo:[1,0,0] neg_hi:[1,0,0]
	v_pk_fma_f32 v[4:5], v[14:15], s[4:5], v[4:5] op_sel:[1,0,0] op_sel_hi:[0,0,1]
	v_pk_fma_f32 v[6:7], v[14:15], s[4:5], v[6:7] op_sel:[1,0,0] op_sel_hi:[0,0,1] neg_lo:[1,0,0] neg_hi:[1,0,0]
	v_mov_b32_e32 v8, v6
	v_mov_b32_e32 v9, v5
	;; [unrolled: 1-line block ×3, first 2 shown]
	v_pk_fma_f32 v[8:9], v[2:3], s[12:13], v[8:9] op_sel_hi:[1,0,1]
	v_pk_fma_f32 v[2:3], v[2:3], s[12:13], v[4:5] op_sel_hi:[1,0,1]
	global_store_dwordx2 v[22:23], v[2:3], off
	global_store_dwordx2 v[24:25], v[8:9], off
	;; [unrolled: 1-line block ×3, first 2 shown]
.LBB0_29:
	s_endpgm
	.section	.rodata,"a",@progbits
	.p2align	6, 0x0
	.amdhsa_kernel fft_rtc_fwd_len1650_factors_11_2_3_5_5_wgs_110_tpt_110_halfLds_sp_op_CI_CI_unitstride_sbrr_dirReg
		.amdhsa_group_segment_fixed_size 0
		.amdhsa_private_segment_fixed_size 0
		.amdhsa_kernarg_size 104
		.amdhsa_user_sgpr_count 2
		.amdhsa_user_sgpr_dispatch_ptr 0
		.amdhsa_user_sgpr_queue_ptr 0
		.amdhsa_user_sgpr_kernarg_segment_ptr 1
		.amdhsa_user_sgpr_dispatch_id 0
		.amdhsa_user_sgpr_kernarg_preload_length 0
		.amdhsa_user_sgpr_kernarg_preload_offset 0
		.amdhsa_user_sgpr_private_segment_size 0
		.amdhsa_uses_dynamic_stack 0
		.amdhsa_enable_private_segment 0
		.amdhsa_system_sgpr_workgroup_id_x 1
		.amdhsa_system_sgpr_workgroup_id_y 0
		.amdhsa_system_sgpr_workgroup_id_z 0
		.amdhsa_system_sgpr_workgroup_info 0
		.amdhsa_system_vgpr_workitem_id 0
		.amdhsa_next_free_vgpr 134
		.amdhsa_next_free_sgpr 50
		.amdhsa_accum_offset 136
		.amdhsa_reserve_vcc 1
		.amdhsa_float_round_mode_32 0
		.amdhsa_float_round_mode_16_64 0
		.amdhsa_float_denorm_mode_32 3
		.amdhsa_float_denorm_mode_16_64 3
		.amdhsa_dx10_clamp 1
		.amdhsa_ieee_mode 1
		.amdhsa_fp16_overflow 0
		.amdhsa_tg_split 0
		.amdhsa_exception_fp_ieee_invalid_op 0
		.amdhsa_exception_fp_denorm_src 0
		.amdhsa_exception_fp_ieee_div_zero 0
		.amdhsa_exception_fp_ieee_overflow 0
		.amdhsa_exception_fp_ieee_underflow 0
		.amdhsa_exception_fp_ieee_inexact 0
		.amdhsa_exception_int_div_zero 0
	.end_amdhsa_kernel
	.text
.Lfunc_end0:
	.size	fft_rtc_fwd_len1650_factors_11_2_3_5_5_wgs_110_tpt_110_halfLds_sp_op_CI_CI_unitstride_sbrr_dirReg, .Lfunc_end0-fft_rtc_fwd_len1650_factors_11_2_3_5_5_wgs_110_tpt_110_halfLds_sp_op_CI_CI_unitstride_sbrr_dirReg
                                        ; -- End function
	.section	.AMDGPU.csdata,"",@progbits
; Kernel info:
; codeLenInByte = 12544
; NumSgprs: 56
; NumVgprs: 134
; NumAgprs: 0
; TotalNumVgprs: 134
; ScratchSize: 0
; MemoryBound: 0
; FloatMode: 240
; IeeeMode: 1
; LDSByteSize: 0 bytes/workgroup (compile time only)
; SGPRBlocks: 6
; VGPRBlocks: 16
; NumSGPRsForWavesPerEU: 56
; NumVGPRsForWavesPerEU: 134
; AccumOffset: 136
; Occupancy: 3
; WaveLimiterHint : 1
; COMPUTE_PGM_RSRC2:SCRATCH_EN: 0
; COMPUTE_PGM_RSRC2:USER_SGPR: 2
; COMPUTE_PGM_RSRC2:TRAP_HANDLER: 0
; COMPUTE_PGM_RSRC2:TGID_X_EN: 1
; COMPUTE_PGM_RSRC2:TGID_Y_EN: 0
; COMPUTE_PGM_RSRC2:TGID_Z_EN: 0
; COMPUTE_PGM_RSRC2:TIDIG_COMP_CNT: 0
; COMPUTE_PGM_RSRC3_GFX90A:ACCUM_OFFSET: 33
; COMPUTE_PGM_RSRC3_GFX90A:TG_SPLIT: 0
	.text
	.p2alignl 6, 3212836864
	.fill 256, 4, 3212836864
	.type	__hip_cuid_42a12d5ac5db3d4d,@object ; @__hip_cuid_42a12d5ac5db3d4d
	.section	.bss,"aw",@nobits
	.globl	__hip_cuid_42a12d5ac5db3d4d
__hip_cuid_42a12d5ac5db3d4d:
	.byte	0                               ; 0x0
	.size	__hip_cuid_42a12d5ac5db3d4d, 1

	.ident	"AMD clang version 19.0.0git (https://github.com/RadeonOpenCompute/llvm-project roc-6.4.0 25133 c7fe45cf4b819c5991fe208aaa96edf142730f1d)"
	.section	".note.GNU-stack","",@progbits
	.addrsig
	.addrsig_sym __hip_cuid_42a12d5ac5db3d4d
	.amdgpu_metadata
---
amdhsa.kernels:
  - .agpr_count:     0
    .args:
      - .actual_access:  read_only
        .address_space:  global
        .offset:         0
        .size:           8
        .value_kind:     global_buffer
      - .offset:         8
        .size:           8
        .value_kind:     by_value
      - .actual_access:  read_only
        .address_space:  global
        .offset:         16
        .size:           8
        .value_kind:     global_buffer
      - .actual_access:  read_only
        .address_space:  global
        .offset:         24
        .size:           8
        .value_kind:     global_buffer
      - .actual_access:  read_only
        .address_space:  global
        .offset:         32
        .size:           8
        .value_kind:     global_buffer
      - .offset:         40
        .size:           8
        .value_kind:     by_value
      - .actual_access:  read_only
        .address_space:  global
        .offset:         48
        .size:           8
        .value_kind:     global_buffer
      - .actual_access:  read_only
        .address_space:  global
        .offset:         56
        .size:           8
        .value_kind:     global_buffer
      - .offset:         64
        .size:           4
        .value_kind:     by_value
      - .actual_access:  read_only
        .address_space:  global
        .offset:         72
        .size:           8
        .value_kind:     global_buffer
      - .actual_access:  read_only
        .address_space:  global
        .offset:         80
        .size:           8
        .value_kind:     global_buffer
      - .actual_access:  read_only
        .address_space:  global
        .offset:         88
        .size:           8
        .value_kind:     global_buffer
      - .actual_access:  write_only
        .address_space:  global
        .offset:         96
        .size:           8
        .value_kind:     global_buffer
    .group_segment_fixed_size: 0
    .kernarg_segment_align: 8
    .kernarg_segment_size: 104
    .language:       OpenCL C
    .language_version:
      - 2
      - 0
    .max_flat_workgroup_size: 110
    .name:           fft_rtc_fwd_len1650_factors_11_2_3_5_5_wgs_110_tpt_110_halfLds_sp_op_CI_CI_unitstride_sbrr_dirReg
    .private_segment_fixed_size: 0
    .sgpr_count:     56
    .sgpr_spill_count: 0
    .symbol:         fft_rtc_fwd_len1650_factors_11_2_3_5_5_wgs_110_tpt_110_halfLds_sp_op_CI_CI_unitstride_sbrr_dirReg.kd
    .uniform_work_group_size: 1
    .uses_dynamic_stack: false
    .vgpr_count:     134
    .vgpr_spill_count: 0
    .wavefront_size: 64
amdhsa.target:   amdgcn-amd-amdhsa--gfx950
amdhsa.version:
  - 1
  - 2
...

	.end_amdgpu_metadata
